;; amdgpu-corpus repo=ROCm/Tensile kind=harvested arch=n/a opt=n/a

/******************************************/
/* Function Prefix                        */
/******************************************/



/******************************************/
/* Begin Kernel                           */
/******************************************/

// Component.Signature.SignatureDefault
.amdgcn_target "amdgcn-amd-amdhsa--gfx942"
.text
.protected Cijk_Alik_Bljk_BBS_BH_MT256x256x32_MI16x16x16x1_SN_1LDSB1_APM1_AF0EM1_AF1EM1_AMAS3_ASE_ASGT_ASLT_ASM_ASAE01_ASCE01_ASEM1_BL1_BS1_CLR0_DTVA0_DTVB0_ETSP_EPS1_ELFLR0_EMLL0_FSSC10_FL0_GLVWA2_GLVWB8_GRCGA1_GRPM1_GRVWn1_GSU1_GSUASB_GLS1_IU1_K1_LBSPPA256_LBSPPB128_LPA4_LPB8_LRVW4_LWPMn1_MIAV0_MKFGSU256_NTA0_NTB0_NTC3_NTD3_NEPBS0_NLCA1_NLCB1_ONLL1_PGR2_PLR3_PKA0_SIA3_SLW1_SS1_SU32_SUM0_SUS256_SPO1_SRVW0_SSO6_SVW4_TSGRA0_TSGRB0_TT16_64_TLDS1_UMLDSA1_UMLDSB1_USFGROn1_VAW1_VSn1_VW4_VWB1_VFLRP0_WSGRA0_WSGRB0_WG16_16_1_WGM30
.globl Cijk_Alik_Bljk_BBS_BH_MT256x256x32_MI16x16x16x1_SN_1LDSB1_APM1_AF0EM1_AF1EM1_AMAS3_ASE_ASGT_ASLT_ASM_ASAE01_ASCE01_ASEM1_BL1_BS1_CLR0_DTVA0_DTVB0_ETSP_EPS1_ELFLR0_EMLL0_FSSC10_FL0_GLVWA2_GLVWB8_GRCGA1_GRPM1_GRVWn1_GSU1_GSUASB_GLS1_IU1_K1_LBSPPA256_LBSPPB128_LPA4_LPB8_LRVW4_LWPMn1_MIAV0_MKFGSU256_NTA0_NTB0_NTC3_NTD3_NEPBS0_NLCA1_NLCB1_ONLL1_PGR2_PLR3_PKA0_SIA3_SLW1_SS1_SU32_SUM0_SUS256_SPO1_SRVW0_SSO6_SVW4_TSGRA0_TSGRB0_TT16_64_TLDS1_UMLDSA1_UMLDSB1_USFGROn1_VAW1_VSn1_VW4_VWB1_VFLRP0_WSGRA0_WSGRB0_WG16_16_1_WGM30
.p2align 8
.type Cijk_Alik_Bljk_BBS_BH_MT256x256x32_MI16x16x16x1_SN_1LDSB1_APM1_AF0EM1_AF1EM1_AMAS3_ASE_ASGT_ASLT_ASM_ASAE01_ASCE01_ASEM1_BL1_BS1_CLR0_DTVA0_DTVB0_ETSP_EPS1_ELFLR0_EMLL0_FSSC10_FL0_GLVWA2_GLVWB8_GRCGA1_GRPM1_GRVWn1_GSU1_GSUASB_GLS1_IU1_K1_LBSPPA256_LBSPPB128_LPA4_LPB8_LRVW4_LWPMn1_MIAV0_MKFGSU256_NTA0_NTB0_NTC3_NTD3_NEPBS0_NLCA1_NLCB1_ONLL1_PGR2_PLR3_PKA0_SIA3_SLW1_SS1_SU32_SUM0_SUS256_SPO1_SRVW0_SSO6_SVW4_TSGRA0_TSGRB0_TT16_64_TLDS1_UMLDSA1_UMLDSB1_USFGROn1_VAW1_VSn1_VW4_VWB1_VFLRP0_WSGRA0_WSGRB0_WG16_16_1_WGM30,@function
.section .rodata,#alloc
.p2align 6
.amdhsa_kernel Cijk_Alik_Bljk_BBS_BH_MT256x256x32_MI16x16x16x1_SN_1LDSB1_APM1_AF0EM1_AF1EM1_AMAS3_ASE_ASGT_ASLT_ASM_ASAE01_ASCE01_ASEM1_BL1_BS1_CLR0_DTVA0_DTVB0_ETSP_EPS1_ELFLR0_EMLL0_FSSC10_FL0_GLVWA2_GLVWB8_GRCGA1_GRPM1_GRVWn1_GSU1_GSUASB_GLS1_IU1_K1_LBSPPA256_LBSPPB128_LPA4_LPB8_LRVW4_LWPMn1_MIAV0_MKFGSU256_NTA0_NTB0_NTC3_NTD3_NEPBS0_NLCA1_NLCB1_ONLL1_PGR2_PLR3_PKA0_SIA3_SLW1_SS1_SU32_SUM0_SUS256_SPO1_SRVW0_SSO6_SVW4_TSGRA0_TSGRB0_TT16_64_TLDS1_UMLDSA1_UMLDSB1_USFGROn1_VAW1_VSn1_VW4_VWB1_VFLRP0_WSGRA0_WSGRB0_WG16_16_1_WGM30
  .amdhsa_user_sgpr_kernarg_segment_ptr 1
  .amdhsa_user_sgpr_kernarg_preload_offset 0
  .amdhsa_user_sgpr_kernarg_preload_length 0
  .amdhsa_user_sgpr_count 2
  .amdhsa_accum_offset 256 // accvgpr offset
  .amdhsa_next_free_vgpr 512 // vgprs
  .amdhsa_next_free_sgpr 81 // sgprs
  .amdhsa_group_segment_fixed_size 35328 // lds bytes
  .amdhsa_private_segment_fixed_size 0
  .amdhsa_system_sgpr_workgroup_id_x 1
  .amdhsa_system_sgpr_workgroup_id_y 1
  .amdhsa_system_sgpr_workgroup_id_z 1
  .amdhsa_system_vgpr_workitem_id 0
  .amdhsa_float_denorm_mode_32 3
  .amdhsa_float_denorm_mode_16_64 3
.end_amdhsa_kernel
.text

/******************************************/
/* Optimizations and Config:              */
/******************************************/
/* ThreadTile= 64 x 4 */
/* SubGroup= 4 x 64 */
/* VectorWidthA=4 */
/* VectorWidthB=1 */
/* GlobalLoadVectorWidthA=2, GlobalLoadVectorWidthB=8 */
/* DirectToLdsA=False */
/* DirectToLdsB=False */
/* UseSgprForGRO=1 */
.amdgpu_metadata
---
amdhsa.version:
  - 1
  - 1
amdhsa.target: amdgcn-amd-amdhsa--gfx942
amdhsa.kernels:
  - .name: Cijk_Alik_Bljk_BBS_BH_MT256x256x32_MI16x16x16x1_SN_1LDSB1_APM1_AF0EM1_AF1EM1_AMAS3_ASE_ASGT_ASLT_ASM_ASAE01_ASCE01_ASEM1_BL1_BS1_CLR0_DTVA0_DTVB0_ETSP_EPS1_ELFLR0_EMLL0_FSSC10_FL0_GLVWA2_GLVWB8_GRCGA1_GRPM1_GRVWn1_GSU1_GSUASB_GLS1_IU1_K1_LBSPPA256_LBSPPB128_LPA4_LPB8_LRVW4_LWPMn1_MIAV0_MKFGSU256_NTA0_NTB0_NTC3_NTD3_NEPBS0_NLCA1_NLCB1_ONLL1_PGR2_PLR3_PKA0_SIA3_SLW1_SS1_SU32_SUM0_SUS256_SPO1_SRVW0_SSO6_SVW4_TSGRA0_TSGRB0_TT16_64_TLDS1_UMLDSA1_UMLDSB1_USFGROn1_VAW1_VSn1_VW4_VWB1_VFLRP0_WSGRA0_WSGRB0_WG16_16_1_WGM30
    .symbol: 'Cijk_Alik_Bljk_BBS_BH_MT256x256x32_MI16x16x16x1_SN_1LDSB1_APM1_AF0EM1_AF1EM1_AMAS3_ASE_ASGT_ASLT_ASM_ASAE01_ASCE01_ASEM1_BL1_BS1_CLR0_DTVA0_DTVB0_ETSP_EPS1_ELFLR0_EMLL0_FSSC10_FL0_GLVWA2_GLVWB8_GRCGA1_GRPM1_GRVWn1_GSU1_GSUASB_GLS1_IU1_K1_LBSPPA256_LBSPPB128_LPA4_LPB8_LRVW4_LWPMn1_MIAV0_MKFGSU256_NTA0_NTB0_NTC3_NTD3_NEPBS0_NLCA1_NLCB1_ONLL1_PGR2_PLR3_PKA0_SIA3_SLW1_SS1_SU32_SUM0_SUS256_SPO1_SRVW0_SSO6_SVW4_TSGRA0_TSGRB0_TT16_64_TLDS1_UMLDSA1_UMLDSB1_USFGROn1_VAW1_VSn1_VW4_VWB1_VFLRP0_WSGRA0_WSGRB0_WG16_16_1_WGM30.kd'
    .language:                   OpenCL C
    .language_version:
      - 2
      - 0
    .args:
      - .name:            Tensor2dSizeA
        .size:            8
        .offset:          0
        .value_kind:      by_value
        .value_type:      u64
      - .name:            Tensor2dSizeB
        .size:            8
        .offset:          8
        .value_kind:      by_value
        .value_type:      u64
      - .name:            AddressD
        .size:            8
        .offset:          16
        .value_kind:      by_value
        .value_type:      u64
      - .name:            AddressC
        .size:            8
        .offset:          24
        .value_kind:      by_value
        .value_type:      u64
      - .name:            AddressA
        .size:            8
        .offset:          32
        .value_kind:      by_value
        .value_type:      u64
      - .name:            AddressB
        .size:            8
        .offset:          40
        .value_kind:      by_value
        .value_type:      u64
      - .name:            Alpha
        .size:            4
        .offset:          48
        .value_kind:      by_value
        .value_type:      u32
      - .name:            Beta
        .size:            4
        .offset:          52
        .value_kind:      by_value
        .value_type:      u32
      - .name:            StridesD
        .size:            8
        .offset:          56
        .value_kind:      by_value
        .value_type:      u64
      - .name:            StridesC
        .size:            8
        .offset:          64
        .value_kind:      by_value
        .value_type:      u64
      - .name:            StridesA
        .size:            8
        .offset:          72
        .value_kind:      by_value
        .value_type:      u64
      - .name:            StridesB
        .size:            8
        .offset:          80
        .value_kind:      by_value
        .value_type:      u64
      - .name:            SizesFree
        .size:            12
        .offset:          88
        .value_kind:      by_value
        .value_type:      u96
      - .name:            SizesSum
        .size:            4
        .offset:          100
        .value_kind:      by_value
        .value_type:      u32
      - .name:            OrigStaggerUIter
        .size:            4
        .offset:          104
        .value_kind:      by_value
        .value_type:      u32
      - .name:            NumWorkGroups0
        .size:            4
        .offset:          108
        .value_kind:      by_value
        .value_type:      u32
      - .name:            NumWorkGroups1
        .size:            4
        .offset:          112
        .value_kind:      by_value
        .value_type:      u32
      - .name:            NumFullBlocks
        .size:            4
        .offset:          116
        .value_kind:      by_value
        .value_type:      u32
      - .name:            WgmRemainder1
        .size:            4
        .offset:          120
        .value_kind:      by_value
        .value_type:      u32
      - .name:            MagicNumberWgmRemainder1
        .size:            4
        .offset:          124
        .value_kind:      by_value
        .value_type:      u32
    .group_segment_fixed_size:   35328
    .kernarg_segment_align:      8
    .kernarg_segment_size:       128
    .max_flat_workgroup_size:    256
    .private_segment_fixed_size: 0
    .sgpr_count:                 81
    .sgpr_spill_count:           0
    .vgpr_count:                 256
    .vgpr_spill_count:           0
    .wavefront_size:             64
...
.end_amdgpu_metadata
Cijk_Alik_Bljk_BBS_BH_MT256x256x32_MI16x16x16x1_SN_1LDSB1_APM1_AF0EM1_AF1EM1_AMAS3_ASE_ASGT_ASLT_ASM_ASAE01_ASCE01_ASEM1_BL1_BS1_CLR0_DTVA0_DTVB0_ETSP_EPS1_ELFLR0_EMLL0_FSSC10_FL0_GLVWA2_GLVWB8_GRCGA1_GRPM1_GRVWn1_GSU1_GSUASB_GLS1_IU1_K1_LBSPPA256_LBSPPB128_LPA4_LPB8_LRVW4_LWPMn1_MIAV0_MKFGSU256_NTA0_NTB0_NTC3_NTD3_NEPBS0_NLCA1_NLCB1_ONLL1_PGR2_PLR3_PKA0_SIA3_SLW1_SS1_SU32_SUM0_SUS256_SPO1_SRVW0_SSO6_SVW4_TSGRA0_TSGRB0_TT16_64_TLDS1_UMLDSA1_UMLDSB1_USFGROn1_VAW1_VSn1_VW4_VWB1_VFLRP0_WSGRA0_WSGRB0_WG16_16_1_WGM30:

/******************************************/
/* Asm syntax workarounds                 */
/******************************************/
.macro _v_add_co_u32 dst:req, cc:req, src0:req, src1:req, dpp=
   v_add_co_u32 \dst, \cc, \src0, \src1 \dpp
.endm

.macro _v_add_u32 dst:req, src0:req, src1:req, dpp=
   v_add_u32 \dst, \src0, \src1 \dpp
.endm

.macro _v_add_i32 dst:req, src0:req, src1:req, dpp=
   v_add_i32 \dst, \src0, \src1 \dpp
.endm

.macro _v_addc_co_u32 dst:req, ccOut:req, src0:req, ccIn:req, src1:req, dpp=
   v_addc_co_u32 \dst, \ccOut, \src0, \ccIn, \src1 \dpp
.endm

.macro _v_sub_co_u32 dst:req, cc:req, src0:req, src1:req, dpp=
   v_sub_co_u32 \dst, \cc, \src0, \src1 \dpp
.endm

.macro _v_sub_u32 dst:req, src0:req, src1:req, dpp=
   v_sub_u32 \dst, \src0, \src1 \dpp
.endm

.macro _v_sub_i32 dst:req, src0:req, src1:req, dpp=
   v_sub_i32 \dst, \src0, \src1 \dpp
.endm

.macro _v_add_lshl_u32 dst:req, src0:req, src1:req, shiftCnt:req
    v_add_lshl_u32 \dst, \src0, \src1, \shiftCnt
.endm

.macro _v_lshl_add_u32 dst:req, src0:req, src1:req, shiftCnt:req
    v_lshl_add_u32 \dst, \src0, \src1, \shiftCnt
.endm

.macro _v_lshl_or_b32 dst:req, src0:req, shiftCnt:req, src1:req
    v_lshl_or_b32 \dst, \src0, \shiftCnt, \src1
.endm

.macro _v_dot2acc_f32_f16 dst, src0, src1
v_dot2c_f32_f16 \dst, \src0, \src1
.endm

.macro _v_cmpx_lt_i16 dst, src0, src1=
   v_cmpx_lt_i16 \dst, \src0, \src1 
.endm

.macro _v_cmpx_lt_i32 dst, src0, src1=
   v_cmpx_lt_i32 \dst, \src0, \src1 
.endm

.macro _v_cmpx_lt_i64 dst, src0, src1=
   v_cmpx_lt_i64 \dst, \src0, \src1 
.endm

.macro _v_cmpx_lt_u16 dst, src0, src1=
   v_cmpx_lt_u16 \dst, \src0, \src1 
.endm

.macro _v_cmpx_lt_u32 dst, src0, src1=
   v_cmpx_lt_u32 \dst, \src0, \src1 
.endm

.macro _v_cmpx_lt_u64 dst, src0, src1=
   v_cmpx_lt_u64 \dst, \src0, \src1 
.endm

.macro _v_cmpx_eq_i16 dst, src0, src1=
   v_cmpx_eq_i16 \dst, \src0, \src1 
.endm

.macro _v_cmpx_eq_i32 dst, src0, src1=
   v_cmpx_eq_i32 \dst, \src0, \src1 
.endm

.macro _v_cmpx_eq_i64 dst, src0, src1=
   v_cmpx_eq_i64 \dst, \src0, \src1 
.endm

.macro _v_cmpx_eq_u16 dst, src0, src1=
   v_cmpx_eq_u16 \dst, \src0, \src1 
.endm

.macro _v_cmpx_eq_u32 dst, src0, src1=
   v_cmpx_eq_u32 \dst, \src0, \src1 
.endm

.macro _v_cmpx_eq_u64 dst, src0, src1=
   v_cmpx_eq_u64 \dst, \src0, \src1 
.endm

.macro _v_cmpx_le_i16 dst, src0, src1=
   v_cmpx_le_i16 \dst, \src0, \src1 
.endm

.macro _v_cmpx_le_i32 dst, src0, src1=
   v_cmpx_le_i32 \dst, \src0, \src1 
.endm

.macro _v_cmpx_le_i64 dst, src0, src1=
   v_cmpx_le_i64 \dst, \src0, \src1 
.endm

.macro _v_cmpx_le_u16 dst, src0, src1=
   v_cmpx_le_u16 \dst, \src0, \src1 
.endm

.macro _v_cmpx_le_u32 dst, src0, src1=
   v_cmpx_le_u32 \dst, \src0, \src1 
.endm

.macro _v_cmpx_le_u64 dst, src0, src1=
   v_cmpx_le_u64 \dst, \src0, \src1 
.endm

.macro _v_cmpx_gt_i16 dst, src0, src1=
   v_cmpx_gt_i16 \dst, \src0, \src1 
.endm

.macro _v_cmpx_gt_i32 dst, src0, src1=
   v_cmpx_gt_i32 \dst, \src0, \src1 
.endm

.macro _v_cmpx_gt_i64 dst, src0, src1=
   v_cmpx_gt_i64 \dst, \src0, \src1 
.endm

.macro _v_cmpx_gt_u16 dst, src0, src1=
   v_cmpx_gt_u16 \dst, \src0, \src1 
.endm

.macro _v_cmpx_gt_u32 dst, src0, src1=
   v_cmpx_gt_u32 \dst, \src0, \src1 
.endm

.macro _v_cmpx_gt_u64 dst, src0, src1=
   v_cmpx_gt_u64 \dst, \src0, \src1 
.endm

.macro _v_cmpx_ne_i16 dst, src0, src1=
   v_cmpx_ne_i16 \dst, \src0, \src1 
.endm

.macro _v_cmpx_ne_i32 dst, src0, src1=
   v_cmpx_ne_i32 \dst, \src0, \src1 
.endm

.macro _v_cmpx_ne_i64 dst, src0, src1=
   v_cmpx_ne_i64 \dst, \src0, \src1 
.endm

.macro _v_cmpx_ne_u16 dst, src0, src1=
   v_cmpx_ne_u16 \dst, \src0, \src1 
.endm

.macro _v_cmpx_ne_u32 dst, src0, src1=
   v_cmpx_ne_u32 \dst, \src0, \src1 
.endm

.macro _v_cmpx_ne_u64 dst, src0, src1=
   v_cmpx_ne_u64 \dst, \src0, \src1 
.endm

.macro _v_cmpx_lg_i16 dst, src0, src1=
   v_cmpx_lg_i16 \dst, \src0, \src1 
.endm

.macro _v_cmpx_lg_i32 dst, src0, src1=
   v_cmpx_lg_i32 \dst, \src0, \src1 
.endm

.macro _v_cmpx_lg_i64 dst, src0, src1=
   v_cmpx_lg_i64 \dst, \src0, \src1 
.endm

.macro _v_cmpx_lg_u16 dst, src0, src1=
   v_cmpx_lg_u16 \dst, \src0, \src1 
.endm

.macro _v_cmpx_lg_u32 dst, src0, src1=
   v_cmpx_lg_u32 \dst, \src0, \src1 
.endm

.macro _v_cmpx_lg_u64 dst, src0, src1=
   v_cmpx_lg_u64 \dst, \src0, \src1 
.endm

.macro _v_cmpx_ge_i16 dst, src0, src1=
   v_cmpx_ge_i16 \dst, \src0, \src1 
.endm

.macro _v_cmpx_ge_i32 dst, src0, src1=
   v_cmpx_ge_i32 \dst, \src0, \src1 
.endm

.macro _v_cmpx_ge_i64 dst, src0, src1=
   v_cmpx_ge_i64 \dst, \src0, \src1 
.endm

.macro _v_cmpx_ge_u16 dst, src0, src1=
   v_cmpx_ge_u16 \dst, \src0, \src1 
.endm

.macro _v_cmpx_ge_u32 dst, src0, src1=
   v_cmpx_ge_u32 \dst, \src0, \src1 
.endm

.macro _v_cmpx_ge_u64 dst, src0, src1=
   v_cmpx_ge_u64 \dst, \src0, \src1 
.endm

.macro _v_cmpx_o_i16 dst, src0, src1=
   v_cmpx_o_i16 \dst, \src0, \src1 
.endm

.macro _v_cmpx_o_i32 dst, src0, src1=
   v_cmpx_o_i32 \dst, \src0, \src1 
.endm

.macro _v_cmpx_o_i64 dst, src0, src1=
   v_cmpx_o_i64 \dst, \src0, \src1 
.endm

.macro _v_cmpx_o_u16 dst, src0, src1=
   v_cmpx_o_u16 \dst, \src0, \src1 
.endm

.macro _v_cmpx_o_u32 dst, src0, src1=
   v_cmpx_o_u32 \dst, \src0, \src1 
.endm

.macro _v_cmpx_o_u64 dst, src0, src1=
   v_cmpx_o_u64 \dst, \src0, \src1 
.endm

.macro _v_cmpx_u_i16 dst, src0, src1=
   v_cmpx_u_i16 \dst, \src0, \src1 
.endm

.macro _v_cmpx_u_i32 dst, src0, src1=
   v_cmpx_u_i32 \dst, \src0, \src1 
.endm

.macro _v_cmpx_u_i64 dst, src0, src1=
   v_cmpx_u_i64 \dst, \src0, \src1 
.endm

.macro _v_cmpx_u_u16 dst, src0, src1=
   v_cmpx_u_u16 \dst, \src0, \src1 
.endm

.macro _v_cmpx_u_u32 dst, src0, src1=
   v_cmpx_u_u32 \dst, \src0, \src1 
.endm

.macro _v_cmpx_u_u64 dst, src0, src1=
   v_cmpx_u_u64 \dst, \src0, \src1 
.endm
.macro _v_mac_f32 c:req, a:req, b:req
    v_fmac_f32 \c, \a, \b
.endmacro

/* scale global load macros */
.macro _s_load_b32 dst base offset
    s_load_dword \dst \base \offset
.endm

.macro _s_load_b64 dst base offset
    s_load_dwordx2 \dst \base \offset
.endm

.macro _s_load_b128 dst base offset
    s_load_dwordx4 \dst \base \offset
.endm

.macro _s_load_b256 dst base offset
    s_load_dwordx8 \dst \base \offset
.endm

.macro _s_load_b512 dst base offset
    s_load_dwordx16 \dst \base \offset
.endm


/* ds operation macros */
.macro _ds_load_u8 dst src offset
    ds_read_u8 \dst \src \offset
.endm

.macro _ds_load_u8_d16_hi dst src offset
    ds_read_u8_d16_hi \dst \src \offset
.endm

.macro _ds_load_u16 dst src offset
    ds_read_u16 \dst \src \offset
.endm

.macro _ds_load_u16_d16_hi dst src offset
    ds_read_u16_d16_hi \dst \src \offset
.endm

.macro _ds_load_b32 dst src offset
    ds_read_b32 \dst \src \offset
.endm

.macro _ds_load_b64 dst src offset
    ds_read_b64 \dst \src \offset
.endm

.macro _ds_load_b128 dst src offset
    ds_read_b128 \dst \src \offset
.endm

.macro _ds_store_b8 dst src offset
    ds_write_b8 \dst \src \offset
.endm

.macro _ds_store_b8_d16_hi dst src offset
    ds_write_b8_d16_hi \dst \src \offset
.endm

.macro _ds_store_b16 dst src offset
    ds_write_b16 \dst \src \offset
.endm

.macro _ds_store_b16_d16_hi dst src offset
    ds_write_b16_d16_hi \dst \src \offset
.endm

.macro _ds_store_b32 dst src offset
    ds_write_b32 \dst \src \offset
.endm

.macro _ds_store_b64 dst src offset
    ds_write_b64 \dst \src \offset
.endm

.macro _ds_store_b128 dst src offset
    ds_write_b128 \dst \src \offset
.endm

.macro _ds_load2_b32 dst src offset1 offset2
    ds_read2_b32 \dst \src \offset1 \offset2
.endm

.macro _ds_load2_b64 dst src offset1 offset2
    ds_read2_b64 \dst \src \offset1 \offset2
.endm

.macro _ds_store2_b32 dst src offset1 offset2
    ds_write2_b32 \dst \src \offset1 \offset2
.endm

.macro _ds_store2_b64 dst src offset1 offset2
    ds_write2_b64 \dst \src \offset1 \offset2
.endm


/* buffer memory operation macros */
.macro _buffer_load_b32 dst voffset base soffset offen ioffset md0 md1 md2
    buffer_load_dword \dst \voffset \base \soffset \offen \ioffset \md0 \md1 \md2
.endm

.macro _buffer_load_b64 dst voffset base soffset offen ioffset md0 md1 md2
    buffer_load_dwordx2 \dst \voffset \base \soffset \offen \ioffset \md0 \md1 \md2
.endm

.macro _buffer_load_b96 dst voffset base soffset offen ioffset md0 md1 md2
    buffer_load_dwordx3 \dst \voffset \base \soffset \offen \ioffset \md0 \md1 \md2
.endm

.macro _buffer_load_b128 dst voffset base soffset offen ioffset md0 md1 md2
    buffer_load_dwordx4 \dst \voffset \base \soffset \offen \ioffset \md0 \md1 \md2
.endm

.macro _buffer_load_d16_b16 dst voffset base soffset offen ioffset md0 md1 md2
    buffer_load_short_d16 \dst \voffset \base \soffset \offen \ioffset \md0 \md1 \md2
.endm

.macro _buffer_load_d16_hi_b16 dst voffset base soffset offen ioffset md0 md1 md2
    buffer_load_short_d16_hi \dst \voffset \base \soffset \offen \ioffset \md0 \md1 \md2
.endm

.macro _buffer_load_d16_u8 dst voffset base soffset offen ioffset md0 md1 md2
    buffer_load_ubyte_d16 \dst \voffset \base \soffset \offen \ioffset \md0 \md1 \md2
.endm

.macro _buffer_load_d16_hi_u8 dst voffset base soffset offen ioffset md0 md1 md2
    buffer_load_ubyte_d16_hi \dst \voffset \base \soffset \offen \ioffset \md0 \md1 \md2
.endm

.macro _buffer_load_u16 dst voffset base soffset offen ioffset md0 md1 md2
    buffer_load_ushort \dst \voffset \base \soffset \offen \ioffset \md0 \md1 \md2
.endm

.macro _buffer_load_b32_dtl voffset base soffset offen ioffset md0 md1 md2
    buffer_load_dword \voffset \base \soffset \offen \ioffset \md0 \md1 \md2
.endm

.macro _buffer_load_b64_dtl voffset base soffset offen ioffset md0 md1 md2
    buffer_load_dwordx2 \voffset \base \soffset \offen \ioffset \md0 \md1 \md2
.endm

.macro _buffer_load_b128_dtl voffset base soffset offen ioffset md0 md1 md2
    buffer_load_dwordx4 \voffset \base \soffset \offen \ioffset \md0 \md1 \md2
.endm

.macro _buffer_load_u16_dtl voffset base soffset offen ioffset md0 md1 md2
    buffer_load_ushort \voffset \base \soffset \offen \ioffset \md0 \md1 \md2
.endm

.macro _buffer_store_b32 src voffset base soffset offen ioffset md0 md1 md2
    buffer_store_dword \src \voffset \base \soffset \offen \ioffset \md0 \md1 \md2
.endm

.macro _buffer_store_b64 src voffset base soffset offen ioffset md0 md1 md2
    buffer_store_dwordx2 \src \voffset \base \soffset \offen \ioffset \md0 \md1 \md2
.endm

.macro _buffer_store_b96 src voffset base soffset offen ioffset md0 md1 md2
    buffer_store_dwordx3 \src \voffset \base \soffset \offen \ioffset \md0 \md1 \md2
.endm

.macro _buffer_store_b128 src voffset base soffset offen ioffset md0 md1 md2
    buffer_store_dwordx4 \src \voffset \base \soffset \offen \ioffset \md0 \md1 \md2
.endm

.macro _buffer_store_b16 src voffset base soffset offen ioffset md0 md1 md2
    buffer_store_short \src \voffset \base \soffset \offen \ioffset \md0 \md1 \md2
.endm

.macro _buffer_store_d16_hi_b16 src voffset base soffset offen ioffset md0 md1 md2
    buffer_store_short_d16_hi \src \voffset \base \soffset \offen \ioffset \md0 \md1 \md2
.endm

.macro _buffer_store_b8 src voffset base soffset offen ioffset md0 md1 md2
    buffer_store_byte \src \voffset \base \soffset \offen \ioffset \md0 \md1 \md2
.endm

.macro _buffer_store_d16_hi_b8 src voffset base soffset offen ioffset md0 md1 md2
    buffer_store_byte_d16_hi \src \voffset \base \soffset \offen \ioffset \md0 \md1 \md2
.endm

.macro _buffer_atomic_cmpswap_b32 dst voffset base soffset offen ioffset md0 md1 md2
    buffer_atomic_cmpswap \dst \voffset \base \soffset \offen \ioffset \md0 \md1 \md2
.endm

.macro _buffer_atomic_cmpswap_b64 dst voffset base soffset offen ioffset md0 md1 md2
    buffer_atomic_cmpswap_x2 \dst \voffset \base \soffset \offen \ioffset \md0 \md1 \md2
.endm


/* buffer memory operation macros */
.macro _global_load_b32 dst base src ioffset md0 md1 md2
    global_load_dword \dst \base \src \ioffset \md0 \md1 \md2
.endm

.macro _global_load_b64 dst base src ioffset md0 md1 md2
    global_load_dwordx2 \dst \base \src \ioffset \md0 \md1 \md2
.endm

.macro _global_load_b96 dst base src ioffset md0 md1 md2
    global_load_dwordx3 \dst \base \src \ioffset \md0 \md1 \md2
.endm

.macro _global_load_b128 dst base src ioffset md0 md1 md2
    global_load_dwordx4 \dst \base \src \ioffset \md0 \md1 \md2
.endm

.macro _global_load_d16_b16 dst base src ioffset md0 md1 md2
    global_load_short_d16 \dst \base \src \ioffset \md0 \md1 \md2
.endm

.macro _global_load_d16_hi_b16 dst base src ioffset md0 md1 md2
    global_load_short_d16_hi \dst \base \src \ioffset \md0 \md1 \md2
.endm

.macro _global_load_d16_u8 dst base src ioffset md0 md1 md2
    global_load_ubyte_d16 \dst \base \src \ioffset \md0 \md1 \md2
.endm

.macro _global_load_d16_hi_u8 dst base src ioffset md0 md1 md2
    global_load_ubyte_d16_hi \dst \base \src \ioffset \md0 \md1 \md2
.endm

.macro _global_load_u16 dst base src ioffset md0 md1 md2
    global_load_ushort \dst \base \src \ioffset \md0 \md1 \md2
.endm

.macro _global_store_b32 base src src2 md0 md1 md2
    global_store_dword \base \src \src2 \md0 \md1 \md2
.endm

.macro _global_store_b64 base src src2 md0 md1 md2
    global_store_dwordx2 \base \src \src2 \md0 \md1 \md2
.endm

.macro _global_store_b96 base src src2 md0 md1 md2
    global_store_dwordx3 \base \src \src2 \md0 \md1 \md2
.endm

.macro _global_store_b128 base src src2 md0 md1 md2
    global_store_dwordx4 \base \src \src2 \md0 \md1 \md2
.endm

.macro _global_store_d16_b16 base src src2 md0 md1 md2
    global_store_short \base \src \src2 \md0 \md1 \md2
.endm

.macro _global_store_d16_hi_b16 base src src2 md0 md1 md2
    global_store_short_d16_hi \base \src \src2 \md0 \md1 \md2
.endm

.macro _global_store_d16_u8 base src src2 md0 md1 md2
    global_store_ubyte_d16 \base \src \src2 \md0 \md1 \md2
.endm

.macro _global_store_d16_hi_u8 base src src2 md0 md1 md2
    global_store_ubyte_d16_hi \base \src \src2 \md0 \md1 \md2
.endm

.macro _global_store_u16 base src src2 md0 md1 md2
    global_store_ushort \base \src \src2 \md0 \md1 \md2
.endm

.macro _global_atomic_cmpswap_b32 tmp base data src ioffset md
    global_atomic_cmpswap \tmp \base \data \src \ioffset \md
.endm

.macro _global_atomic_cmpswap_b64 tmp base data src ioffset md
    global_atomic_cmpswap_x2 \tmp \base \data \src \ioffset \md
.endm


/******************************************/
/* Magic div and mod functions            */
/******************************************/
.macro V_MAGIC_DIV dstIdx:req, dividend:req, magicNumber:req, magicShift:req, magicA:req
    v_mul_hi_u32 v[\dstIdx+1], \dividend, \magicNumber
    v_mul_lo_u32 v[\dstIdx+0], \dividend, \magicA
    _v_add_u32 v[\dstIdx+0], v[\dstIdx+0], v[\dstIdx+1]
    v_lshrrev_b32 v[\dstIdx+0], \magicShift, v[\dstIdx+0]
.endm

/******************************************/
/* VGPR Assignments                       */
/******************************************/
/* ValuC range: [0-0), serializedStore enabled */
.set vgprValuC, 0
/* ValuA/B   Xn=PLR buffer idx,  In=InnerUnroll idx */
.set vgprValuA_X0_I0, 0
.set vgprValuA_X1_I0, 32
.set vgprG2LA, 84
.set vgprValuB_X0_I0, 64
.set vgprValuB_X1_I0, 72
.set vgprG2LB, 100
.set vgprLocalWriteAddrA, 80
.set vgprLocalWriteAddrB, 81
.set vgprGlobalReadOffsetA, 82
.set vgprGlobalReadOffsetB, 83
.set vgprLocalReadAddrA, 116
.set vgprLocalReadAddrB, 117
.set vgprSerial, 118
/* Num VGPR=256 */
/* Num AccVGPR=256 */

/******************************************/
/* SGPR Assignments                       */
/******************************************/
.set sgprKernArgAddress, 0 // (2)
.set sgprWorkGroup0, 2 // (1)
.set sgprWorkGroup1, 3 // (1)
.set sgprWorkGroup2, 4 // (1)
.set sgprLoopCounterL, 5 // (1)
.set sgprOrigLoopCounter, 6 // (1)
.set sgprSrdA, 8 // (4)
.set sgprSrdB, 12 // (4)
.set sgprSrdD, 16 // (4)
.set sgprSrdC, 20 // (4)
.set sgprTensor2dSizeA, 24 // (2)
.set sgprTensor2dSizeB, 26 // (2)
.set sgprAddressD, 28 // (2)
.set sgprAddressC, 30 // (2)
.set sgprAddressA, 32 // (2)
.set sgprAddressB, 34 // (2)
.set sgprAlpha, 36 // (1)
.set sgprBeta, 37 // (1)
.set sgprStridesD, 38 // (2)
.set sgprStridesC, 40 // (2)
.set sgprStridesA, 42 // (2)
.set sgprStridesB, 44 // (2)
.set sgprSizesFree, 46 // (3)
.set sgprSizesSum, 49 // (1)
.set sgprOrigStaggerUIter, 50 // (1)
.set sgprNumWorkGroups0, 51 // (1)
.set sgprNumWorkGroups1, 52 // (1)
.set sgprNumFullBlocks, 53 // (1)
.set sgprWgmRemainder1, 54 // (1)
.set sgprMagicNumberWgmRemainder1, 55 // (1)
.set sgprShadowLimitA, 0 // (2)
.set sgprShadowLimitB, 28 // (2)
.set sgprStaggerUIter, 7 // (1)
.set sgprWrapUA, 30 // (2)
.set sgprWrapUB, 32 // (2)
.set sgprGlobalReadIncsA, 34 // (1)
.set sgprGlobalReadIncsB, 35 // (1)
.set sgprScalarGlobalReadOffsetA, 58 // (15)
.set sgprScalarGlobalReadOffsetB, 73 // (3)
/* max SGPR=81 */

/* Size Assignments */
.set sgprSizeI, sgprSizesFree+0
.set sgprSizeJ, sgprSizesFree+1
.set sgprSizeK, sgprSizesFree+2
.set sgprSizeL, sgprSizesSum+0

/* Stride Assignments */
.set constStrideD0I, 1
.set sgprStrideD1J, sgprStridesD+0
.set sgprStrideDK, sgprStridesD+1
.set constStrideC0I, 1
.set sgprStrideC1J, sgprStridesC+0
.set sgprStrideCK, sgprStridesC+1
.set constStrideAL, 1
.set sgprStrideA0I, sgprStridesA+0
.set sgprStrideAK, sgprStridesA+1
.set constStrideBL, 1
.set sgprStrideB1J, sgprStridesB+0
.set sgprStrideBK, sgprStridesB+1

.set MT0, 256
.set MT1, 256
.set DepthU, 32
.set GSU, 1
.set BpeA, 2
.set BpeALog2, 1
.set BpeB, 2
.set BpeBLog2, 1
/* Number of elements to shift-left SRD */
.set SrdShiftLeftA, 2
.set SrdShiftLeftB, 8
/* 2GB limit - set offsets to -1 to exceed this and clamp */
.set BufferLimitA, 0xffffffff
.set BufferLimitB, 0xffffffff
.set BufferOOB, 0xfffff000

/******************************************/
/* Bits 127:96 of SRD.                    */
/* hex: 0x00020000                        */
/* dst_sel_x (3b): 0                      */
/* dst_sel_y (3b): 0                      */
/* dst_sel_z (3b): 0                      */
/* dst_sel_w (3b): 0                      */
/* num_format (3b): 0                     */
/* data_format (4b): 4                    */
/* user_vm_enable (1b): 0                 */
/* user_vm_mode (1b): 0                   */
/* index_stride (2b): 0                   */
/* add_tid_enable (1b): 0                 */
/* _unusedA (3b): 0                       */
/* nv (1b): 0                             */
/* _unusedB (2b): 0                       */
/* type (2b): 0                           */
/******************************************/
.set Srd127_96, 0x00020000

/* Global Offset A */
.macro GLOBAL_OFFSET_A vgprAddr:req vgprOffsetL:req vgprOffset0I:req vgprTmp:req
v_mul_lo_u32 v[\vgprTmp+0], s[sgprStrideA0I], v[\vgprOffset0I] // mul d1 lower
_v_add_co_u32 v[\vgprAddr+0], vcc, v[\vgprOffsetL], v[\vgprTmp+0] // accumulate K lower
_v_add_u32 v[\vgprAddr+0], 0x2, v[\vgprAddr+0]     // add prepad for pointer shift
v_lshlrev_b32 v[\vgprAddr+0], 0x1, v[\vgprAddr+0]  // offset *= bytes/element
.endm

/* Global Offset B */
.macro GLOBAL_OFFSET_B vgprAddr:req vgprOffsetL:req vgprOffset1J:req vgprTmp:req
v_mul_lo_u32 v[\vgprTmp+0], s[sgprStrideB1J], v[\vgprOffset1J] // mul d1 lower
_v_add_co_u32 v[\vgprAddr+0], vcc, v[\vgprOffsetL], v[\vgprTmp+0] // accumulate K lower
_v_add_u32 v[\vgprAddr+0], 0x8, v[\vgprAddr+0]     // add prepad for pointer shift
v_lshlrev_b32 v[\vgprAddr+0], 0x1, v[\vgprAddr+0]  // offset *= bytes/element
.endm

/******************************************/
/* Dynamic Scalar Divide: vQuotient=vDividend/vDivisor; vRemainder=vDividend%vDivisor; */
/******************************************/
.macro DYNAMIC_VECTOR_DIVIDE vQuotient vRemainder vDividend vDivisor vTmp0 vTmp1 sTmp
v_cvt_f32_u32 v[\vQuotient], v[\vDivisor]          // 
v_rcp_f32 v[\vQuotient], v[\vQuotient]             // 
v_mul_f32 v[\vQuotient], 0x4f800000, v[\vQuotient] // 
v_cvt_u32_f32 v[\vQuotient], v[\vQuotient]         // 
v_mul_lo_u32 v[\vRemainder], v[\vDivisor], v[\vQuotient] // 
v_mul_hi_u32 v[\vTmp0], v[\vDivisor], v[\vQuotient] // 
_v_sub_co_u32 v[\vTmp1], vcc, 0x0, v[\vRemainder]  // 
v_cmp_ne_i32 s[\sTmp:\sTmp+1], 0x0, v[\vTmp0]      // 
v_cndmask_b32 v[\vRemainder], v[\vTmp1], v[\vRemainder], s[\sTmp:\sTmp+1] // 
v_mul_hi_u32 v[\vRemainder], v[\vRemainder], v[\vQuotient] // 
_v_sub_co_u32 v[\vTmp0], vcc, v[\vQuotient], v[\vRemainder] // 
_v_add_co_u32 v[\vQuotient], vcc, v[\vQuotient], v[\vRemainder] // 
v_cndmask_b32 v[\vQuotient], v[\vQuotient], v[\vTmp0], s[\sTmp:\sTmp+1] // 
v_mul_hi_u32 v[\vQuotient], v[\vQuotient], v[\vDividend] // 
v_mul_lo_u32 v[\vRemainder], v[\vQuotient], v[\vDivisor] // 
_v_sub_co_u32 v[\vTmp0], vcc, v[\vDividend], v[\vRemainder] // 
v_cmp_ge_u32 s[\sTmp:\sTmp+1], v[\vDividend], v[\vRemainder] // 
_v_add_co_u32 v[\vRemainder], vcc, 0x1, v[\vQuotient] // 
_v_add_co_u32 v[\vTmp1], vcc, -1, v[\vQuotient]    // 
v_cmp_le_u32 vcc, v[\vDivisor], v[\vTmp0]          // 
s_and_b64 vcc, s[\sTmp:\sTmp+1], vcc               // 
v_cndmask_b32 v[\vQuotient], v[\vQuotient], v[\vRemainder], vcc // 
v_cndmask_b32 v[\vQuotient], v[\vTmp1], v[\vQuotient], s[\sTmp:\sTmp+1] // 
v_cmp_ne_i32 vcc, 0x0, v[\vDivisor]                // 
v_cndmask_b32 v[\vQuotient], -1, v[\vQuotient], vcc // final result
v_mul_lo_u32 v[\vRemainder], v[\vQuotient], v[\vDivisor] // 
_v_sub_co_u32 v[\vRemainder], vcc, v[\vDividend], v[\vRemainder] // final result
.endm


	;; [unrolled: 1-line block ×3, first 2 shown]
/******************************************/
/* Allocate Resources                     */
/******************************************/

Cijk_Alik_Bljk_BBS_BH_MT256x256x32_MI16x16x16x1_SN_1LDSB1_APM1_AF0EM1_AF1EM1_AMAS3_ASE_ASGT_ASLT_ASM_ASAE01_ASCE01_ASEM1_BL1_BS1_CLR0_DTVA0_DTVB0_ETSP_EPS1_ELFLR0_EMLL0_FSSC10_FL0_GLVWA2_GLVWB8_GRCGA1_GRPM1_GRVWn1_GSU1_GSUASB_GLS1_IU1_K1_LBSPPA256_LBSPPB128_LPA4_LPB8_LRVW4_LWPMn1_MIAV0_MKFGSU256_NTA0_NTB0_NTC3_NTD3_NEPBS0_NLCA1_NLCB1_ONLL1_PGR2_PLR3_PKA0_SIA3_SLW1_SS1_SU32_SUM0_SUS256_SPO1_SRVW0_SSO6_SVW4_TSGRA0_TSGRB0_TT16_64_TLDS1_UMLDSA1_UMLDSB1_USFGROn1_VAW1_VSn1_VW4_VWB1_VFLRP0_WSGRA0_WSGRB0_WG16_16_1_WGM30_preloaded: // Kernel start when preloading
s_setprio 3                                        // optimization store

/* Load Kernel Args */
_s_load_b512 s[24:39], s[sgprKernArgAddress:sgprKernArgAddress+1], 0x0 // 
_s_load_b512 s[40:55], s[sgprKernArgAddress:sgprKernArgAddress+1], 0x40 // 
s_mov_b32 m0, 0x8a00                               // LDS clamp at 35328 bytes
v_mov_b32 v[vgprSerial], v0                        // thread serial id

/******************************************/
/* Local Read Addresses                   */
/******************************************/


/* local read addresses: tile assignments a/b */

/*lr0I*/
v_and_b32 v1, 63, v[vgprSerial]                    // 0. thread id in wave: wtid = tid % wavelength(64)
v_and_b32 v0, 15, v1                               // 1. N offset: nIdx = wtid % MI_N(16)
v_lshlrev_b32 v0, 0x5, v0                          // 1. N offset: nOffset = nIdx * nStride(32)
                                                   // 2. block offset: bnIdx = bnIdx % num1DBlocks(1) is 0. do nothing
v_lshlrev_b32 v0, 0x2, v0                          // 4. apply VectorWidth: bnOffset = bnOffset * vw(4)
v_lshrrev_b32 v1, 4, v1                            // 5. K offset: kIdx = wtid / (MIN(16) * MIBB(1))
v_lshlrev_b32 v1, 0x2, v1                          // 5. K offset: lrKOffset = kIdx * mStride(4)
_v_add_u32 v0, v1, v0                              // 6. offset in wave: lrOffset = bnOffset + lrKOffset
/*lr1J*/
v_and_b32 v2, 63, v[vgprSerial]                    // 0. thread id in wave: wtid = tid % wavelength(64)
v_and_b32 v1, 15, v2                               // 1. N offset: nIdx = wtid % MI_N(16)
v_lshlrev_b32 v1, 0x5, v1                          // 1. N offset: nOffset = nIdx * nStride(32)
                                                   // 2. block offset: bnIdx = bnIdx % num1DBlocks(1) is 0. do nothing
                                                   // 4. apply VectorWidth: bnOffset = bnOffset * vw(1) (multiplier is 1, do nothing)
v_lshrrev_b32 v2, 4, v2                            // 5. K offset: kIdx = wtid / (MIN(16) * MIBB(1))
v_lshlrev_b32 v2, 0x2, v2                          // 5. K offset: lrKOffset = kIdx * mStride(4)
_v_add_u32 v1, v2, v1                              // 6. offset in wave: lrOffset = bnOffset + lrKOffset
v_lshrrev_b32 v3, 6, v[vgprSerial]                 // 7. wave offset in N dimen: wtid = tid / dividedForWaveId(64)
v_and_b32 v2, 3, v3                                // 7. wave offset in M dimen: wtid0 = wtid / num1DWaves(4)
v_lshlrev_b32 v2, 0x9, v2                          // 7. wave offset in M dimen: wOffset = wtid0 * W0Stride(512)
_v_add_u32 v1, v2, v1                              // 8. final local read offset: flrOffset = lrOffset + WOffset


/* local read addresses: final offsets a */

v_lshlrev_b32 v[vgprLocalReadAddrA], 0x1, v0       // Final Offset: offset = (lro0)*bpe
v_lshrrev_b32 v0, 8, v[vgprLocalReadAddrA]         // Final Offset: padding 4 per block 256
v_lshlrev_b32 v0, 0x3, v0                          // Final Offset: padding 4 per block 256
_v_add_u32 v[vgprLocalReadAddrA], v0, v[vgprLocalReadAddrA] // Final Offset: add padding 4 per block 256


/* local read addresses: final offsets b */

v_lshlrev_b32 v[vgprLocalReadAddrB], 0x1, v1       // Final Offset: offset = (lro1)*bpe
v_lshrrev_b32 v0, 7, v[vgprLocalReadAddrB]         // Final Offset: padding 8 per block 128
v_lshlrev_b32 v0, 0x4, v0                          // Final Offset: padding 8 per block 128
_v_add_u32 v[vgprLocalReadAddrB], v0, v[vgprLocalReadAddrB] // Final Offset: add padding 8 per block 128


/* local read addresses: declare addresses a */

/* N/A */


/* local read addresses: declare addresses b */

_v_add_co_u32 v[vgprLocalReadAddrB+0], vcc, 0x4200, v[vgprLocalReadAddrB+0] //  += LdsOffsetB (lower)


/* global read addresses: tile offset assignment a */

/* LVCA = 16 */
/* v0 = (local)groA-tile = serial/LVCA (note (wgA*MTA) will be added to SRD) */
/* v1 = groA-unroll = serial%LVCA */
v_lshrrev_b32 v0, 4, v[vgprSerial]                 // v0 = v[vgprSerial] / 16
v_and_b32 v1, 15, v[vgprSerial]                    // v1 = v[vgprSerial] % 16
/* gro-unroll *= glvw */
v_lshlrev_b32 v1, 0x1, v1                          // v1 = v1 * 2


/* global read addresses: tile offset assignment b */

/* LVCB = 4 */
/* v2 = (local)groB-tile = serial/LVCB (note (wgB*MTB) will be added to SRD) */
/* v3 = groB-unroll = serial%LVCB */
v_lshrrev_b32 v2, 2, v[vgprSerial]                 // v2 = v[vgprSerial] / 4
v_and_b32 v3, 3, v[vgprSerial]                     // v3 = v[vgprSerial] % 4
/* gro-unroll *= glvw */
v_lshlrev_b32 v3, 0x3, v3                          // v3 = v3 * 8


/******************************************/
/* Local Write Addresses                  */
/******************************************/

/* lwaTileAssignmentA = v0 */

/* lwaTileAssignmentB = v2 */

/* lwaUnrollAssignmentA = v1 */

/* lwaUnrollAssignmentB = v3 */


/* local write addresses: first offset a */

v_mul_u32_u24 v[vgprLocalWriteAddrA], 0x20, v0     // lwAL**(DepthU_Compute + PAD)
_v_add_lshl_u32 v[vgprLocalWriteAddrA], v1, v[vgprLocalWriteAddrA], 0x1 // lwFOA = (lwAA + lwAL*(DepthU+PAD))*bpe
v_lshrrev_b32 v4, 8, v[vgprLocalWriteAddrA]        // padding 4 per block 256
v_lshlrev_b32 v4, 0x3, v4                          // padding 4 per block 256
_v_add_u32 v[vgprLocalWriteAddrA], v4, v[vgprLocalWriteAddrA] // add padding 4 per block 256


/* local write addresses: first offset b */

v_mul_u32_u24 v[vgprLocalWriteAddrB], 0x20, v2     // lwBL**(DepthU_Compute + PAD)
_v_add_lshl_u32 v[vgprLocalWriteAddrB], v3, v[vgprLocalWriteAddrB], 0x1 // lwFOB = (lwBB + lwBL*(DepthU+PAD))*bpe
v_lshrrev_b32 v4, 7, v[vgprLocalWriteAddrB]        // padding 8 per block 128
v_lshlrev_b32 v4, 0x4, v4                          // padding 8 per block 128
_v_add_u32 v[vgprLocalWriteAddrB], v4, v[vgprLocalWriteAddrB] // add padding 8 per block 128
_v_add_co_u32 v[vgprLocalWriteAddrB], vcc, 0x4200, v[vgprLocalWriteAddrB] // lwFOB = lwB1J + lwBL*MT1J + LDS_OFFSET_B=8448*2


	;; [unrolled: 1-line block ×7, first 2 shown]
s_waitcnt lgkmcnt(0)                               // wait for 128 bytes of kern args
s_mov_b64 s[sgprSrdC+0:sgprSrdC+0+1], s[sgprAddressC+0:sgprAddressC+0+1] // copy addressC
s_mov_b64 s[sgprSrdD+0:sgprSrdD+0+1], s[sgprAddressD+0:sgprAddressD+0+1] // copy addressD
s_sub_u32 s[sgprSrdA+0], s[sgprAddressA+0], 4      // pre-pad to make room for possible pointer shift
s_subb_u32 s[sgprSrdA+1], s[sgprAddressA+1], 0     // pre-pad to make room for possible pointer shift
s_sub_u32 s[sgprSrdB+0], s[sgprAddressB+0], 16     // pre-pad to make room for possible pointer shift
s_subb_u32 s[sgprSrdB+1], s[sgprAddressB+1], 0     // pre-pad to make room for possible pointer shift

.set AddressD, UNDEF
.set AddressC, UNDEF
.set AddressA, UNDEF
.set AddressB, UNDEF

/* Short circuit condition if Alpha == 0, then sumDims=0 */
v_cmp_eq_f32 vcc, s[sgprAlpha], 0.0                // Alpha == 0.0f ?
s_cbranch_vccz label_AlphaNonZero                  // branch if alpha != 0
s_mov_b32 s[sgprSizesSum+0], 0x0                   // Set summation dim=0 if Alpha == 0
label_AlphaNonZero:


	;; [unrolled: 1-line block ×3, first 2 shown]
/******************************************/
/* Begin setupNewTile, isPap=False           */
/******************************************/


/* global read addresses: work-group */

/* graWorkGroup mapping */
s_mov_b32 s79, 0x4444445L                          // magic number for WGM==30
s_mul_hi_u32 s77, s[sgprWorkGroup1], s79           // s_magic mul
s_mul_i32 s76, s[sgprWorkGroup1], s79              // s_magic mul
s_lshr_b64 s[76:77], s[76:77], 31                  // sMagicDiv
s_mul_i32 s77, s76, 30                             // quotient * non-magic divisor
s_sub_u32 s77, s[sgprWorkGroup1], s77              // WorkGroup1=remainder
s_mul_i32 s77, s77, s[sgprNumWorkGroups0]          // (wg1 % WGM)*nwg0
s_add_u32 s77, s77, s[sgprWorkGroup0]              // wgSerial = wg0 + (wg1 % WGM)*nwg1
s_cmp_ge_u32 s76, s[sgprNumFullBlocks]             // blockId >= numFullBlocks ?
s_cmov_b32 s79, s[sgprMagicNumberWgmRemainder1]    // 
s_cselect_b32 s78, s[sgprWgmRemainder1], 30        // 
s_mul_hi_u32 s3, s77, s79                          // s_magic mul
s_mul_i32 s2, s77, s79                             // s_magic mul
s_lshr_b64 s[2:3], s[2:3], 31                      // sMagicDiv
s_mul_i32 s[sgprWorkGroup1], s[sgprWorkGroup0], s78 // quotient * non-magic divisor
s_sub_u32 s[sgprWorkGroup1], s77, s[sgprWorkGroup1] // WorkGroup1=remainder
s_mul_i32 s76, s76, 30                             // blockId * WGM
s_add_u32 s[sgprWorkGroup1], s[sgprWorkGroup1], s76 // wg1 += blockId * WGM


/* global read addresses: unroll assignment a */

/* v1 */


/* global read addresses: unroll assignment b */

/* v3 */


/* global read addresses: other free assignments */

/* s[sgprWorkGroup2] */


/* global read addresses: tile offsets a */


	;; [unrolled: 1-line block ×3, first 2 shown]
/* global read addresses: tile offsets b */


	;; [unrolled: 1-line block ×3, first 2 shown]
/* global read addresses: unroll offsets a */


	;; [unrolled: 1-line block ×3, first 2 shown]
/* global read addresses: unroll offsets b */


	;; [unrolled: 1-line block ×3, first 2 shown]
/* global read addresses: final offsets a */

GLOBAL_OFFSET_A vgprGlobalReadOffsetA+0,  1,  0, 4 // gROA_0_0_0_0
s_mul_i32 s[sgprScalarGlobalReadOffsetA+0], s[sgprStrideA0I], 16 // compute offset diff (scaled tileDim)
s_lshl_b32 s[sgprScalarGlobalReadOffsetA+0], s[sgprScalarGlobalReadOffsetA+0], 0x1 // scalar offset *= bytes/element
s_mul_i32 s[sgprScalarGlobalReadOffsetA+1], s[sgprStrideA0I], 32 // compute offset diff (scaled tileDim)
s_lshl_b32 s[sgprScalarGlobalReadOffsetA+1], s[sgprScalarGlobalReadOffsetA+1], 0x1 // scalar offset *= bytes/element
s_mul_i32 s[sgprScalarGlobalReadOffsetA+2], s[sgprStrideA0I], 48 // compute offset diff (scaled tileDim)
s_lshl_b32 s[sgprScalarGlobalReadOffsetA+2], s[sgprScalarGlobalReadOffsetA+2], 0x1 // scalar offset *= bytes/element
s_mul_i32 s[sgprScalarGlobalReadOffsetA+3], s[sgprStrideA0I], 64 // compute offset diff (scaled tileDim)
s_lshl_b32 s[sgprScalarGlobalReadOffsetA+3], s[sgprScalarGlobalReadOffsetA+3], 0x1 // scalar offset *= bytes/element
s_mul_i32 s[sgprScalarGlobalReadOffsetA+4], s[sgprStrideA0I], 80 // compute offset diff (scaled tileDim)
s_lshl_b32 s[sgprScalarGlobalReadOffsetA+4], s[sgprScalarGlobalReadOffsetA+4], 0x1 // scalar offset *= bytes/element
s_mul_i32 s[sgprScalarGlobalReadOffsetA+5], s[sgprStrideA0I], 96 // compute offset diff (scaled tileDim)
s_lshl_b32 s[sgprScalarGlobalReadOffsetA+5], s[sgprScalarGlobalReadOffsetA+5], 0x1 // scalar offset *= bytes/element
s_mul_i32 s[sgprScalarGlobalReadOffsetA+6], s[sgprStrideA0I], 112 // compute offset diff (scaled tileDim)
s_lshl_b32 s[sgprScalarGlobalReadOffsetA+6], s[sgprScalarGlobalReadOffsetA+6], 0x1 // scalar offset *= bytes/element
s_mul_i32 s[sgprScalarGlobalReadOffsetA+7], s[sgprStrideA0I], 128 // compute offset diff (scaled tileDim)
s_lshl_b32 s[sgprScalarGlobalReadOffsetA+7], s[sgprScalarGlobalReadOffsetA+7], 0x1 // scalar offset *= bytes/element
s_mul_i32 s[sgprScalarGlobalReadOffsetA+8], s[sgprStrideA0I], 144 // compute offset diff (scaled tileDim)
s_lshl_b32 s[sgprScalarGlobalReadOffsetA+8], s[sgprScalarGlobalReadOffsetA+8], 0x1 // scalar offset *= bytes/element
s_mul_i32 s[sgprScalarGlobalReadOffsetA+9], s[sgprStrideA0I], 160 // compute offset diff (scaled tileDim)
s_lshl_b32 s[sgprScalarGlobalReadOffsetA+9], s[sgprScalarGlobalReadOffsetA+9], 0x1 // scalar offset *= bytes/element
s_mul_i32 s[sgprScalarGlobalReadOffsetA+10], s[sgprStrideA0I], 176 // compute offset diff (scaled tileDim)
s_lshl_b32 s[sgprScalarGlobalReadOffsetA+10], s[sgprScalarGlobalReadOffsetA+10], 0x1 // scalar offset *= bytes/element
s_mul_i32 s[sgprScalarGlobalReadOffsetA+11], s[sgprStrideA0I], 192 // compute offset diff (scaled tileDim)
s_lshl_b32 s[sgprScalarGlobalReadOffsetA+11], s[sgprScalarGlobalReadOffsetA+11], 0x1 // scalar offset *= bytes/element
s_mul_i32 s[sgprScalarGlobalReadOffsetA+12], s[sgprStrideA0I], 208 // compute offset diff (scaled tileDim)
s_lshl_b32 s[sgprScalarGlobalReadOffsetA+12], s[sgprScalarGlobalReadOffsetA+12], 0x1 // scalar offset *= bytes/element
s_mul_i32 s[sgprScalarGlobalReadOffsetA+13], s[sgprStrideA0I], 224 // compute offset diff (scaled tileDim)
s_lshl_b32 s[sgprScalarGlobalReadOffsetA+13], s[sgprScalarGlobalReadOffsetA+13], 0x1 // scalar offset *= bytes/element
s_mul_i32 s[sgprScalarGlobalReadOffsetA+14], s[sgprStrideA0I], 240 // compute offset diff (scaled tileDim)
s_lshl_b32 s[sgprScalarGlobalReadOffsetA+14], s[sgprScalarGlobalReadOffsetA+14], 0x1 // scalar offset *= bytes/element


/* global read addresses: final offsets b */

GLOBAL_OFFSET_B vgprGlobalReadOffsetB+0,  3,  2, 4 // gROB_0_0_0_0
s_mul_i32 s[sgprScalarGlobalReadOffsetB+0], s[sgprStrideB1J], 64 // compute offset diff (scaled tileDim)
s_lshl_b32 s[sgprScalarGlobalReadOffsetB+0], s[sgprScalarGlobalReadOffsetB+0], 0x1 // scalar offset *= bytes/element
s_mul_i32 s[sgprScalarGlobalReadOffsetB+1], s[sgprStrideB1J], 128 // compute offset diff (scaled tileDim)
s_lshl_b32 s[sgprScalarGlobalReadOffsetB+1], s[sgprScalarGlobalReadOffsetB+1], 0x1 // scalar offset *= bytes/element
	;; [unrolled: 2-line block ×3, first 2 shown]


/* global read addresses: addresses a */

/* max read offset = size[n] * stride[n-1] */
s_mul_hi_u32 s79, s[sgprWorkGroup0], 256           // WorkGroup[01] * MT
s_mul_i32 s78, s[sgprWorkGroup0], 256              // WorkGroup[01] * MT
s_mul_hi_u32 s79, s78, s[sgprStrideA0I]            // tlu=0, scaled tile-offset by stride
s_mul_i32 s78, s78, s[sgprStrideA0I]               // tlu=0, scaled tile-offset by stride
s_sub_u32 s[sgprShadowLimitA+0], s[sgprTensor2dSizeA], s78 // sub tileStart
s_subb_u32 s[sgprShadowLimitA+1], s[sgprTensor2dSizeA+1], s79 // sub tileStart
s_lshl_b64 s[sgprShadowLimitA:sgprShadowLimitA+1], s[sgprShadowLimitA:sgprShadowLimitA+1], 0x1 // Set limit to use bytes
s_add_u32 s[sgprShadowLimitA+0], s[sgprShadowLimitA+0], 4 // extend limit for pre-pad
s_addc_u32 s[sgprShadowLimitA+1], s[sgprShadowLimitA+1], 0 // extend limit for pre-pad
s_cmp_eq_u32 s[sgprShadowLimitA+1], 0              // are we within 2^32?
s_cselect_b32 s[sgprSrdA+2], s[sgprShadowLimitA+0], BufferLimitA // Move shadow to real if we are within 2^32
s_mul_hi_u32 s77, s[sgprStrideAK], s[sgprWorkGroup2] // Stride*WG
s_mul_i32 s76, s[sgprStrideAK], s[sgprWorkGroup2]  // Stride*WG
s_add_u32 s78, s78, s76                            // accum wg term to tilestart
s_addc_u32 s79, s79, s77                           // accum wg term to tilestart
s_lshl_b64 s[78:79], s[78:79], 0x1                 // tileStart *= BPE
s_add_u32 s[sgprSrdA+0], s[sgprSrdA+0], s78        // SRD base = Address+ tileStart0
s_addc_u32 s[sgprSrdA+1], s[sgprSrdA+1], s79       // SRD base = Address+ tileStart1
s_mov_b32 s[sgprSrdA+3], Srd127_96                 // Set bits 127_96 in SRD


/* global read addresses: addresses b */

/* max read offset = size[n] * stride[n-1] */
s_mul_hi_u32 s79, s[sgprWorkGroup1], 256           // WorkGroup[01] * MT
s_mul_i32 s78, s[sgprWorkGroup1], 256              // WorkGroup[01] * MT
s_mul_hi_u32 s79, s78, s[sgprStrideB1J]            // tlu=0, scaled tile-offset by stride
s_mul_i32 s78, s78, s[sgprStrideB1J]               // tlu=0, scaled tile-offset by stride
s_sub_u32 s[sgprShadowLimitB+0], s[sgprTensor2dSizeB], s78 // sub tileStart
s_subb_u32 s[sgprShadowLimitB+1], s[sgprTensor2dSizeB+1], s79 // sub tileStart
s_lshl_b64 s[sgprShadowLimitB:sgprShadowLimitB+1], s[sgprShadowLimitB:sgprShadowLimitB+1], 0x1 // Set limit to use bytes
s_add_u32 s[sgprShadowLimitB+0], s[sgprShadowLimitB+0], 16 // extend limit for pre-pad
s_addc_u32 s[sgprShadowLimitB+1], s[sgprShadowLimitB+1], 0 // extend limit for pre-pad
s_cmp_eq_u32 s[sgprShadowLimitB+1], 0              // are we within 2^32?
s_cselect_b32 s[sgprSrdB+2], s[sgprShadowLimitB+0], BufferLimitB // Move shadow to real if we are within 2^32
s_mul_hi_u32 s77, s[sgprStrideBK], s[sgprWorkGroup2] // Stride*WG
s_mul_i32 s76, s[sgprStrideBK], s[sgprWorkGroup2]  // Stride*WG
s_add_u32 s78, s78, s76                            // accum wg term to tilestart
s_addc_u32 s79, s79, s77                           // accum wg term to tilestart
s_lshl_b64 s[78:79], s[78:79], 0x1                 // tileStart *= BPE
s_add_u32 s[sgprSrdB+0], s[sgprSrdB+0], s78        // SRD base = Address+ tileStart0
s_addc_u32 s[sgprSrdB+1], s[sgprSrdB+1], s79       // SRD base = Address+ tileStart1
s_mov_b32 s[sgprSrdB+3], Srd127_96                 // Set bits 127_96 in SRD


/* global read addresses: increments a */

s_mov_b32 s[sgprGlobalReadIncsA+0], DepthU*BpeA    // incrA (unrollIdx)


/* global read addresses: increments b */

s_mov_b32 s[sgprGlobalReadIncsB+0], DepthU*BpeB    // incrB (unrollIdx)

/* declare loop num iterations */


s_lshr_b32 s[sgprLoopCounterL], s[sgprSizesSum+0], 5 // s[sgprLoopCounterL] = s[sgprSizesSum+0] / 32
s_mov_b32 s[sgprOrigLoopCounter], s[sgprLoopCounterL] // copy loop counter

s_and_b32 s[sgprStaggerUIter], s[sgprOrigStaggerUIter], s[sgprWorkGroup0] // Compute actual stagger start for this tile
s_lshl_b32 s[sgprStaggerUIter], s[sgprStaggerUIter], 2 // shift by StaggerUStride


/* SRDs += (StaggerUIter) * GlobalReadIncsA+0 */
s_mul_hi_u32 s77, s[sgprStaggerUIter], s[sgprGlobalReadIncsA+0] //  stagger byte offset
s_mul_i32 s76, s[sgprStaggerUIter], s[sgprGlobalReadIncsA+0] //  stagger byte offset
s_mul_hi_u32 s[sgprWrapUA+1], s[sgprLoopCounterL], s[sgprGlobalReadIncsA+0] // Number of bytes accessed by the unroll loop
s_mul_i32 s[sgprWrapUA+0], s[sgprLoopCounterL], s[sgprGlobalReadIncsA+0] // Number of bytes accessed by the unroll loop
s_sub_u32 s[sgprWrapUA+0], s[sgprGlobalReadIncsA+0], s[sgprWrapUA+0] // remove one iteration
s_subb_u32 s[sgprWrapUA+1], 0, s[sgprWrapUA+1]     // remove one iteration
s_add_u32 s[sgprSrdA+0], s[sgprSrdA+0], s76        // gra SRD += inc(lower)
s_addc_u32  s[sgprSrdA+1], s[sgprSrdA+1], s77      // gra SRD += inc(upper)
s_sub_u32 s[sgprShadowLimitA+0], s[sgprShadowLimitA+0], s76 // limit -= inc)
s_subb_u32 s[sgprShadowLimitA+1], s[sgprShadowLimitA+1], s77 // limit -= inc)
s_cmp_eq_u32 s[sgprShadowLimitA+1], 0              // are we within 2^32?
s_cselect_b32 s[sgprSrdA+2], s[sgprShadowLimitA+0], BufferLimitA // Move shadow to real if we are within 2^32


/* SRDs += (StaggerUIter) * GlobalReadIncsB+0 */
s_mul_hi_u32 s77, s[sgprStaggerUIter], s[sgprGlobalReadIncsB+0] //  stagger byte offset
s_mul_i32 s76, s[sgprStaggerUIter], s[sgprGlobalReadIncsB+0] //  stagger byte offset
s_mul_hi_u32 s[sgprWrapUB+1], s[sgprLoopCounterL], s[sgprGlobalReadIncsB+0] // Number of bytes accessed by the unroll loop
s_mul_i32 s[sgprWrapUB+0], s[sgprLoopCounterL], s[sgprGlobalReadIncsB+0] // Number of bytes accessed by the unroll loop
s_sub_u32 s[sgprWrapUB+0], s[sgprGlobalReadIncsB+0], s[sgprWrapUB+0] // remove one iteration
s_subb_u32 s[sgprWrapUB+1], 0, s[sgprWrapUB+1]     // remove one iteration
s_add_u32 s[sgprSrdB+0], s[sgprSrdB+0], s76        // gra SRD += inc(lower)
s_addc_u32  s[sgprSrdB+1], s[sgprSrdB+1], s77      // gra SRD += inc(upper)
s_sub_u32 s[sgprShadowLimitB+0], s[sgprShadowLimitB+0], s76 // limit -= inc)
s_subb_u32 s[sgprShadowLimitB+1], s[sgprShadowLimitB+1], s77 // limit -= inc)
s_cmp_eq_u32 s[sgprShadowLimitB+1], 0              // are we within 2^32?
s_cselect_b32 s[sgprSrdB+2], s[sgprShadowLimitB+0], BufferLimitB // Move shadow to real if we are within 2^32
s_add_u32 s[sgprStaggerUIter], s[sgprStaggerUIter], 2 // Subtract (PGR-1); StaggerUIter now contains target iteration to wrap

/* local read addresses: init pointers a */


/* localReadInitPointers */

/* local read addresses: init pointers b */


/* localReadInitPointers */


/* prefetch: global -> local */

s_cmp_eq_u32 s[sgprLoopCounterL], 0                // at last iteration?
s_setprio 0                                        // optimization store
s_cbranch_scc1 ShadowInitStart_10                  // skip to ShadowInitStart iter b/c numIter==0


_buffer_load_b32 v[vgprG2LA+0], v[vgprGlobalReadOffsetA+0], s[sgprSrdA:sgprSrdA+3], 0, offen offset:0 // G -> Reg 0_0_0_0
_buffer_load_b32 v[vgprG2LA+1], v[vgprGlobalReadOffsetA+0], s[sgprSrdA:sgprSrdA+3], s[sgprScalarGlobalReadOffsetA+0], offen offset:0 // G -> Reg 0_0_1_0
_buffer_load_b32 v[vgprG2LA+2], v[vgprGlobalReadOffsetA+0], s[sgprSrdA:sgprSrdA+3], s[sgprScalarGlobalReadOffsetA+1], offen offset:0 // G -> Reg 0_0_2_0
_buffer_load_b32 v[vgprG2LA+3], v[vgprGlobalReadOffsetA+0], s[sgprSrdA:sgprSrdA+3], s[sgprScalarGlobalReadOffsetA+2], offen offset:0 // G -> Reg 0_0_3_0
_buffer_load_b32 v[vgprG2LA+4], v[vgprGlobalReadOffsetA+0], s[sgprSrdA:sgprSrdA+3], s[sgprScalarGlobalReadOffsetA+3], offen offset:0 // G -> Reg 0_0_4_0
_buffer_load_b32 v[vgprG2LA+5], v[vgprGlobalReadOffsetA+0], s[sgprSrdA:sgprSrdA+3], s[sgprScalarGlobalReadOffsetA+4], offen offset:0 // G -> Reg 0_0_5_0
_buffer_load_b32 v[vgprG2LA+6], v[vgprGlobalReadOffsetA+0], s[sgprSrdA:sgprSrdA+3], s[sgprScalarGlobalReadOffsetA+5], offen offset:0 // G -> Reg 0_0_6_0
_buffer_load_b32 v[vgprG2LA+7], v[vgprGlobalReadOffsetA+0], s[sgprSrdA:sgprSrdA+3], s[sgprScalarGlobalReadOffsetA+6], offen offset:0 // G -> Reg 0_0_7_0
_buffer_load_b32 v[vgprG2LA+8], v[vgprGlobalReadOffsetA+0], s[sgprSrdA:sgprSrdA+3], s[sgprScalarGlobalReadOffsetA+7], offen offset:0 // G -> Reg 0_0_8_0
_buffer_load_b32 v[vgprG2LA+9], v[vgprGlobalReadOffsetA+0], s[sgprSrdA:sgprSrdA+3], s[sgprScalarGlobalReadOffsetA+8], offen offset:0 // G -> Reg 0_0_9_0
_buffer_load_b32 v[vgprG2LA+10], v[vgprGlobalReadOffsetA+0], s[sgprSrdA:sgprSrdA+3], s[sgprScalarGlobalReadOffsetA+9], offen offset:0 // G -> Reg 0_0_10_0
_buffer_load_b32 v[vgprG2LA+11], v[vgprGlobalReadOffsetA+0], s[sgprSrdA:sgprSrdA+3], s[sgprScalarGlobalReadOffsetA+10], offen offset:0 // G -> Reg 0_0_11_0
_buffer_load_b32 v[vgprG2LA+12], v[vgprGlobalReadOffsetA+0], s[sgprSrdA:sgprSrdA+3], s[sgprScalarGlobalReadOffsetA+11], offen offset:0 // G -> Reg 0_0_12_0
_buffer_load_b32 v[vgprG2LA+13], v[vgprGlobalReadOffsetA+0], s[sgprSrdA:sgprSrdA+3], s[sgprScalarGlobalReadOffsetA+12], offen offset:0 // G -> Reg 0_0_13_0
_buffer_load_b32 v[vgprG2LA+14], v[vgprGlobalReadOffsetA+0], s[sgprSrdA:sgprSrdA+3], s[sgprScalarGlobalReadOffsetA+13], offen offset:0 // G -> Reg 0_0_14_0
_buffer_load_b32 v[vgprG2LA+15], v[vgprGlobalReadOffsetA+0], s[sgprSrdA:sgprSrdA+3], s[sgprScalarGlobalReadOffsetA+14], offen offset:0 // G -> Reg 0_0_15_0


_buffer_load_b128 v[vgprG2LB+0:vgprG2LB+0+3], v[vgprGlobalReadOffsetB+0], s[sgprSrdB:sgprSrdB+3], 0, offen offset:0 // G -> Reg 0_0_0_0
_buffer_load_b128 v[vgprG2LB+4:vgprG2LB+4+3], v[vgprGlobalReadOffsetB+0], s[sgprSrdB:sgprSrdB+3], s[sgprScalarGlobalReadOffsetB+0], offen offset:0 // G -> Reg 0_0_1_0
_buffer_load_b128 v[vgprG2LB+8:vgprG2LB+8+3], v[vgprGlobalReadOffsetB+0], s[sgprSrdB:sgprSrdB+3], s[sgprScalarGlobalReadOffsetB+1], offen offset:0 // G -> Reg 0_0_2_0
_buffer_load_b128 v[vgprG2LB+12:vgprG2LB+12+3], v[vgprGlobalReadOffsetB+0], s[sgprSrdB:sgprSrdB+3], s[sgprScalarGlobalReadOffsetB+2], offen offset:0 // G -> Reg 0_0_3_0


/* global read inc A loopL */
s_add_u32 s78, s[sgprLoopCounterL], 1              // remove pf(1)
s_cmp_eq_u32 s[sgprStaggerUIter], s78              // Is this wrapIter? (pf)
s_cselect_b32 s76, s[sgprWrapUA+0], s[sgprGlobalReadIncsA+0] // incLower <- ?
s_cselect_b32 s77, s[sgprWrapUA+1], 0              // incUpper <- ?
s_add_u32 s[sgprSrdA+0], s[sgprSrdA+0], s76        // gra SRD += inc(lower)
s_addc_u32  s[sgprSrdA+1], s[sgprSrdA+1], s77      // gra SRD += inc(upper)
s_sub_u32 s[sgprShadowLimitA+0], s[sgprShadowLimitA+0], s76 // limit -= inc)
s_subb_u32 s[sgprShadowLimitA+1], s[sgprShadowLimitA+1], s77 // limit -= inc)
s_cmp_eq_u32 s[sgprShadowLimitA+1], 0              // are we within 2^32?
s_cselect_b32 s[sgprSrdA+2], s[sgprShadowLimitA+0], BufferLimitA // Move shadow to real if we are within 2^32

/* global read inc B loopL */
s_add_u32 s78, s[sgprLoopCounterL], 1              // remove pf(1)
s_cmp_eq_u32 s[sgprStaggerUIter], s78              // Is this wrapIter? (pf)
s_cselect_b32 s76, s[sgprWrapUB+0], s[sgprGlobalReadIncsB+0] // incLower <- ?
s_cselect_b32 s77, s[sgprWrapUB+1], 0              // incUpper <- ?
s_add_u32 s[sgprSrdB+0], s[sgprSrdB+0], s76        // gra SRD += inc(lower)
s_addc_u32  s[sgprSrdB+1], s[sgprSrdB+1], s77      // gra SRD += inc(upper)
s_sub_u32 s[sgprShadowLimitB+0], s[sgprShadowLimitB+0], s76 // limit -= inc)
s_subb_u32 s[sgprShadowLimitB+1], s[sgprShadowLimitB+1], s77 // limit -= inc)
s_cmp_eq_u32 s[sgprShadowLimitB+1], 0              // are we within 2^32?
s_cselect_b32 s[sgprSrdB+2], s[sgprShadowLimitB+0], BufferLimitB // Move shadow to real if we are within 2^32


/******************************************/
/* End setupNewTile, isPap=False             */
/******************************************/

ShadowInitStart_10: // 

s_mov_b32 s[sgprSrdD+2], BufferOOB                 // 
s_mov_b32 s[sgprSrdD+3], Srd127_96                 // Set bits 127_96 in post-loop SRD

s_mov_b32 s[sgprSrdC+2], BufferOOB                 // 
s_mov_b32 s[sgprSrdC+3], Srd127_96                 // Set bits 127_96 in post-loop SRD


s_mul_i32 s78, MT1, s[sgprWorkGroup1]              // <- wg1*MT1
s_mul_hi_u32 s77, s78, s[sgprStrideC1J]            // CScale s78 by Stride
s_mul_i32 s76, s78, s[sgprStrideC1J]               // CScale s78 by Stride
s_lshl_b64 s[76:77], s[76:77], 1                   // scale by bpe
s_add_u32 s[sgprSrdC+0], s[sgprSrdC+0], s76        // add lo to SRD
s_addc_u32 s[sgprSrdC+1], s[sgprSrdC+1], s77       // add hi to SRD
s_mul_hi_u32 s77, s78, s[sgprStrideD1J]            // Scale s78 by Stride
s_mul_i32 s76, s78, s[sgprStrideD1J]               // Scale s78 by Stride
s_lshl_b64 s[76:77], s[76:77], 1                   // scale by bpe
s_add_u32 s[sgprSrdD+0], s[sgprSrdD+0], s76        // add lo to SRD
s_addc_u32 s[sgprSrdD+1], s[sgprSrdD+1], s77       // add hi to SRD

s_mul_hi_u32 s77, s[sgprWorkGroup2], s[sgprStrideCK] // CScale s[sgprWorkGroup2] by Stride
s_mul_i32 s76, s[sgprWorkGroup2], s[sgprStrideCK]  // CScale s[sgprWorkGroup2] by Stride
s_lshl_b64 s[76:77], s[76:77], 1                   // scale by bpe
s_add_u32 s[sgprSrdC+0], s[sgprSrdC+0], s76        // add lo to SRD
s_addc_u32 s[sgprSrdC+1], s[sgprSrdC+1], s77       // add hi to SRD
s_mul_hi_u32 s77, s[sgprWorkGroup2], s[sgprStrideDK] // Scale s[sgprWorkGroup2] by Stride
s_mul_i32 s76, s[sgprWorkGroup2], s[sgprStrideDK]  // Scale s[sgprWorkGroup2] by Stride
s_lshl_b64 s[76:77], s[76:77], 1                   // scale by bpe
s_add_u32 s[sgprSrdD+0], s[sgprSrdD+0], s76        // add lo to SRD
s_addc_u32 s[sgprSrdD+1], s[sgprSrdD+1], s77       // add hi to SRD


	;; [unrolled: 1-line block ×3, first 2 shown]
/* initC: remove C-tile 0-0 from pool */

/* initC: remove AB-tile 0-80 from pool */
v_accvgpr_write acc0, 0x0                          // initC
v_accvgpr_write acc1, 0x0                          // initC
v_accvgpr_write acc2, 0x0                          // initC
v_accvgpr_write acc3, 0x0                          // initC
v_accvgpr_write acc4, 0x0                          // initC
v_accvgpr_write acc5, 0x0                          // initC
v_accvgpr_write acc6, 0x0                          // initC
v_accvgpr_write acc7, 0x0                          // initC
v_accvgpr_write acc8, 0x0                          // initC
v_accvgpr_write acc9, 0x0                          // initC
v_accvgpr_write acc10, 0x0                         // initC
v_accvgpr_write acc11, 0x0                         // initC
v_accvgpr_write acc12, 0x0                         // initC
v_accvgpr_write acc13, 0x0                         // initC
v_accvgpr_write acc14, 0x0                         // initC
v_accvgpr_write acc15, 0x0                         // initC
v_accvgpr_write acc16, 0x0                         // initC
v_accvgpr_write acc17, 0x0                         // initC
v_accvgpr_write acc18, 0x0                         // initC
v_accvgpr_write acc19, 0x0                         // initC
v_accvgpr_write acc20, 0x0                         // initC
v_accvgpr_write acc21, 0x0                         // initC
v_accvgpr_write acc22, 0x0                         // initC
v_accvgpr_write acc23, 0x0                         // initC
v_accvgpr_write acc24, 0x0                         // initC
v_accvgpr_write acc25, 0x0                         // initC
v_accvgpr_write acc26, 0x0                         // initC
v_accvgpr_write acc27, 0x0                         // initC
v_accvgpr_write acc28, 0x0                         // initC
v_accvgpr_write acc29, 0x0                         // initC
v_accvgpr_write acc30, 0x0                         // initC
v_accvgpr_write acc31, 0x0                         // initC
v_accvgpr_write acc32, 0x0                         // initC
v_accvgpr_write acc33, 0x0                         // initC
v_accvgpr_write acc34, 0x0                         // initC
v_accvgpr_write acc35, 0x0                         // initC
v_accvgpr_write acc36, 0x0                         // initC
v_accvgpr_write acc37, 0x0                         // initC
v_accvgpr_write acc38, 0x0                         // initC
v_accvgpr_write acc39, 0x0                         // initC
v_accvgpr_write acc40, 0x0                         // initC
v_accvgpr_write acc41, 0x0                         // initC
v_accvgpr_write acc42, 0x0                         // initC
v_accvgpr_write acc43, 0x0                         // initC
v_accvgpr_write acc44, 0x0                         // initC
v_accvgpr_write acc45, 0x0                         // initC
v_accvgpr_write acc46, 0x0                         // initC
v_accvgpr_write acc47, 0x0                         // initC
v_accvgpr_write acc48, 0x0                         // initC
v_accvgpr_write acc49, 0x0                         // initC
v_accvgpr_write acc50, 0x0                         // initC
v_accvgpr_write acc51, 0x0                         // initC
v_accvgpr_write acc52, 0x0                         // initC
v_accvgpr_write acc53, 0x0                         // initC
v_accvgpr_write acc54, 0x0                         // initC
v_accvgpr_write acc55, 0x0                         // initC
v_accvgpr_write acc56, 0x0                         // initC
v_accvgpr_write acc57, 0x0                         // initC
v_accvgpr_write acc58, 0x0                         // initC
v_accvgpr_write acc59, 0x0                         // initC
v_accvgpr_write acc60, 0x0                         // initC
v_accvgpr_write acc61, 0x0                         // initC
v_accvgpr_write acc62, 0x0                         // initC
v_accvgpr_write acc63, 0x0                         // initC
v_accvgpr_write acc64, 0x0                         // initC
v_accvgpr_write acc65, 0x0                         // initC
v_accvgpr_write acc66, 0x0                         // initC
v_accvgpr_write acc67, 0x0                         // initC
v_accvgpr_write acc68, 0x0                         // initC
v_accvgpr_write acc69, 0x0                         // initC
v_accvgpr_write acc70, 0x0                         // initC
v_accvgpr_write acc71, 0x0                         // initC
v_accvgpr_write acc72, 0x0                         // initC
v_accvgpr_write acc73, 0x0                         // initC
v_accvgpr_write acc74, 0x0                         // initC
v_accvgpr_write acc75, 0x0                         // initC
v_accvgpr_write acc76, 0x0                         // initC
v_accvgpr_write acc77, 0x0                         // initC
v_accvgpr_write acc78, 0x0                         // initC
v_accvgpr_write acc79, 0x0                         // initC
v_accvgpr_write acc80, 0x0                         // initC
v_accvgpr_write acc81, 0x0                         // initC
v_accvgpr_write acc82, 0x0                         // initC
v_accvgpr_write acc83, 0x0                         // initC
v_accvgpr_write acc84, 0x0                         // initC
v_accvgpr_write acc85, 0x0                         // initC
v_accvgpr_write acc86, 0x0                         // initC
v_accvgpr_write acc87, 0x0                         // initC
v_accvgpr_write acc88, 0x0                         // initC
v_accvgpr_write acc89, 0x0                         // initC
v_accvgpr_write acc90, 0x0                         // initC
v_accvgpr_write acc91, 0x0                         // initC
v_accvgpr_write acc92, 0x0                         // initC
v_accvgpr_write acc93, 0x0                         // initC
v_accvgpr_write acc94, 0x0                         // initC
v_accvgpr_write acc95, 0x0                         // initC
v_accvgpr_write acc96, 0x0                         // initC
v_accvgpr_write acc97, 0x0                         // initC
v_accvgpr_write acc98, 0x0                         // initC
v_accvgpr_write acc99, 0x0                         // initC
v_accvgpr_write acc100, 0x0                        // initC
v_accvgpr_write acc101, 0x0                        // initC
v_accvgpr_write acc102, 0x0                        // initC
v_accvgpr_write acc103, 0x0                        // initC
v_accvgpr_write acc104, 0x0                        // initC
v_accvgpr_write acc105, 0x0                        // initC
v_accvgpr_write acc106, 0x0                        // initC
v_accvgpr_write acc107, 0x0                        // initC
v_accvgpr_write acc108, 0x0                        // initC
v_accvgpr_write acc109, 0x0                        // initC
v_accvgpr_write acc110, 0x0                        // initC
v_accvgpr_write acc111, 0x0                        // initC
v_accvgpr_write acc112, 0x0                        // initC
v_accvgpr_write acc113, 0x0                        // initC
v_accvgpr_write acc114, 0x0                        // initC
v_accvgpr_write acc115, 0x0                        // initC
v_accvgpr_write acc116, 0x0                        // initC
v_accvgpr_write acc117, 0x0                        // initC
v_accvgpr_write acc118, 0x0                        // initC
v_accvgpr_write acc119, 0x0                        // initC
v_accvgpr_write acc120, 0x0                        // initC
v_accvgpr_write acc121, 0x0                        // initC
v_accvgpr_write acc122, 0x0                        // initC
v_accvgpr_write acc123, 0x0                        // initC
v_accvgpr_write acc124, 0x0                        // initC
v_accvgpr_write acc125, 0x0                        // initC
v_accvgpr_write acc126, 0x0                        // initC
v_accvgpr_write acc127, 0x0                        // initC
v_accvgpr_write acc128, 0x0                        // initC
v_accvgpr_write acc129, 0x0                        // initC
v_accvgpr_write acc130, 0x0                        // initC
v_accvgpr_write acc131, 0x0                        // initC
v_accvgpr_write acc132, 0x0                        // initC
v_accvgpr_write acc133, 0x0                        // initC
v_accvgpr_write acc134, 0x0                        // initC
v_accvgpr_write acc135, 0x0                        // initC
v_accvgpr_write acc136, 0x0                        // initC
v_accvgpr_write acc137, 0x0                        // initC
v_accvgpr_write acc138, 0x0                        // initC
v_accvgpr_write acc139, 0x0                        // initC
v_accvgpr_write acc140, 0x0                        // initC
v_accvgpr_write acc141, 0x0                        // initC
v_accvgpr_write acc142, 0x0                        // initC
v_accvgpr_write acc143, 0x0                        // initC
v_accvgpr_write acc144, 0x0                        // initC
v_accvgpr_write acc145, 0x0                        // initC
v_accvgpr_write acc146, 0x0                        // initC
v_accvgpr_write acc147, 0x0                        // initC
v_accvgpr_write acc148, 0x0                        // initC
v_accvgpr_write acc149, 0x0                        // initC
v_accvgpr_write acc150, 0x0                        // initC
v_accvgpr_write acc151, 0x0                        // initC
v_accvgpr_write acc152, 0x0                        // initC
v_accvgpr_write acc153, 0x0                        // initC
v_accvgpr_write acc154, 0x0                        // initC
v_accvgpr_write acc155, 0x0                        // initC
v_accvgpr_write acc156, 0x0                        // initC
v_accvgpr_write acc157, 0x0                        // initC
v_accvgpr_write acc158, 0x0                        // initC
v_accvgpr_write acc159, 0x0                        // initC
v_accvgpr_write acc160, 0x0                        // initC
v_accvgpr_write acc161, 0x0                        // initC
v_accvgpr_write acc162, 0x0                        // initC
v_accvgpr_write acc163, 0x0                        // initC
v_accvgpr_write acc164, 0x0                        // initC
v_accvgpr_write acc165, 0x0                        // initC
v_accvgpr_write acc166, 0x0                        // initC
v_accvgpr_write acc167, 0x0                        // initC
v_accvgpr_write acc168, 0x0                        // initC
v_accvgpr_write acc169, 0x0                        // initC
v_accvgpr_write acc170, 0x0                        // initC
v_accvgpr_write acc171, 0x0                        // initC
v_accvgpr_write acc172, 0x0                        // initC
v_accvgpr_write acc173, 0x0                        // initC
v_accvgpr_write acc174, 0x0                        // initC
v_accvgpr_write acc175, 0x0                        // initC
v_accvgpr_write acc176, 0x0                        // initC
v_accvgpr_write acc177, 0x0                        // initC
v_accvgpr_write acc178, 0x0                        // initC
v_accvgpr_write acc179, 0x0                        // initC
v_accvgpr_write acc180, 0x0                        // initC
v_accvgpr_write acc181, 0x0                        // initC
v_accvgpr_write acc182, 0x0                        // initC
v_accvgpr_write acc183, 0x0                        // initC
v_accvgpr_write acc184, 0x0                        // initC
v_accvgpr_write acc185, 0x0                        // initC
v_accvgpr_write acc186, 0x0                        // initC
v_accvgpr_write acc187, 0x0                        // initC
v_accvgpr_write acc188, 0x0                        // initC
v_accvgpr_write acc189, 0x0                        // initC
v_accvgpr_write acc190, 0x0                        // initC
v_accvgpr_write acc191, 0x0                        // initC
v_accvgpr_write acc192, 0x0                        // initC
v_accvgpr_write acc193, 0x0                        // initC
v_accvgpr_write acc194, 0x0                        // initC
v_accvgpr_write acc195, 0x0                        // initC
v_accvgpr_write acc196, 0x0                        // initC
v_accvgpr_write acc197, 0x0                        // initC
v_accvgpr_write acc198, 0x0                        // initC
v_accvgpr_write acc199, 0x0                        // initC
v_accvgpr_write acc200, 0x0                        // initC
v_accvgpr_write acc201, 0x0                        // initC
v_accvgpr_write acc202, 0x0                        // initC
v_accvgpr_write acc203, 0x0                        // initC
v_accvgpr_write acc204, 0x0                        // initC
v_accvgpr_write acc205, 0x0                        // initC
v_accvgpr_write acc206, 0x0                        // initC
v_accvgpr_write acc207, 0x0                        // initC
v_accvgpr_write acc208, 0x0                        // initC
v_accvgpr_write acc209, 0x0                        // initC
v_accvgpr_write acc210, 0x0                        // initC
v_accvgpr_write acc211, 0x0                        // initC
v_accvgpr_write acc212, 0x0                        // initC
v_accvgpr_write acc213, 0x0                        // initC
v_accvgpr_write acc214, 0x0                        // initC
v_accvgpr_write acc215, 0x0                        // initC
v_accvgpr_write acc216, 0x0                        // initC
v_accvgpr_write acc217, 0x0                        // initC
v_accvgpr_write acc218, 0x0                        // initC
v_accvgpr_write acc219, 0x0                        // initC
v_accvgpr_write acc220, 0x0                        // initC
v_accvgpr_write acc221, 0x0                        // initC
v_accvgpr_write acc222, 0x0                        // initC
v_accvgpr_write acc223, 0x0                        // initC
v_accvgpr_write acc224, 0x0                        // initC
v_accvgpr_write acc225, 0x0                        // initC
v_accvgpr_write acc226, 0x0                        // initC
v_accvgpr_write acc227, 0x0                        // initC
v_accvgpr_write acc228, 0x0                        // initC
v_accvgpr_write acc229, 0x0                        // initC
v_accvgpr_write acc230, 0x0                        // initC
v_accvgpr_write acc231, 0x0                        // initC
v_accvgpr_write acc232, 0x0                        // initC
v_accvgpr_write acc233, 0x0                        // initC
v_accvgpr_write acc234, 0x0                        // initC
v_accvgpr_write acc235, 0x0                        // initC
v_accvgpr_write acc236, 0x0                        // initC
v_accvgpr_write acc237, 0x0                        // initC
v_accvgpr_write acc238, 0x0                        // initC
v_accvgpr_write acc239, 0x0                        // initC
v_accvgpr_write acc240, 0x0                        // initC
v_accvgpr_write acc241, 0x0                        // initC
v_accvgpr_write acc242, 0x0                        // initC
v_accvgpr_write acc243, 0x0                        // initC
v_accvgpr_write acc244, 0x0                        // initC
v_accvgpr_write acc245, 0x0                        // initC
v_accvgpr_write acc246, 0x0                        // initC
v_accvgpr_write acc247, 0x0                        // initC
v_accvgpr_write acc248, 0x0                        // initC
v_accvgpr_write acc249, 0x0                        // initC
v_accvgpr_write acc250, 0x0                        // initC
v_accvgpr_write acc251, 0x0                        // initC
v_accvgpr_write acc252, 0x0                        // initC
v_accvgpr_write acc253, 0x0                        // initC
v_accvgpr_write acc254, 0x0                        // initC
v_accvgpr_write acc255, 0x0                        // initC

s_cmp_eq_u32 s[sgprLoopCounterL], 0                // at last iteration?

/* after InitC, skip to end of prefetch last iter if numIter==0 */
s_cbranch_scc0 label_NoBranch_11                   // Only branch on scc1
s_getpc_B64 s[76:77]                               // addr of next instr
s_add_i32 s78, PrefetchGlobalLastIterEnd_5, 0x4    // target branch offset
s_add_u32 s76, s76, s78                            // add target branch offset
s_addc_u32 s77, s77, 0                             // add high and carry
s_setpc_b64 s[76:77]                               // branch to PrefetchGlobalLastIterEnd_5
label_NoBranch_11:

s_waitcnt vmcnt(0)                                 // lgkmcnt=-1 vmcnt=0 8wait for global read


/* local write a */
_ds_store_b32 v[vgprLocalWriteAddrA], v[vgprG2LA+0] offset:0 // lwoA_0_0_0_0 = (0*LSCA)*(MT0I+PAD) + (0*LSPA) = 0
_ds_store_b32 v[vgprLocalWriteAddrA], v[vgprG2LA+1] offset:1056 // lwoA_0_0_1_0 = (0*LSCA)*(MT0I+PAD) + (1*LSPA) = 1056
_ds_store_b32 v[vgprLocalWriteAddrA], v[vgprG2LA+2] offset:2112 // lwoA_0_0_2_0 = (0*LSCA)*(MT0I+PAD) + (2*LSPA) = 2112
_ds_store_b32 v[vgprLocalWriteAddrA], v[vgprG2LA+3] offset:3168 // lwoA_0_0_3_0 = (0*LSCA)*(MT0I+PAD) + (3*LSPA) = 3168
_ds_store_b32 v[vgprLocalWriteAddrA], v[vgprG2LA+4] offset:4224 // lwoA_0_0_4_0 = (0*LSCA)*(MT0I+PAD) + (4*LSPA) = 4224
_ds_store_b32 v[vgprLocalWriteAddrA], v[vgprG2LA+5] offset:5280 // lwoA_0_0_5_0 = (0*LSCA)*(MT0I+PAD) + (5*LSPA) = 5280
_ds_store_b32 v[vgprLocalWriteAddrA], v[vgprG2LA+6] offset:6336 // lwoA_0_0_6_0 = (0*LSCA)*(MT0I+PAD) + (6*LSPA) = 6336
_ds_store_b32 v[vgprLocalWriteAddrA], v[vgprG2LA+7] offset:7392 // lwoA_0_0_7_0 = (0*LSCA)*(MT0I+PAD) + (7*LSPA) = 7392
_ds_store_b32 v[vgprLocalWriteAddrA], v[vgprG2LA+8] offset:8448 // lwoA_0_0_8_0 = (0*LSCA)*(MT0I+PAD) + (8*LSPA) = 8448
_ds_store_b32 v[vgprLocalWriteAddrA], v[vgprG2LA+9] offset:9504 // lwoA_0_0_9_0 = (0*LSCA)*(MT0I+PAD) + (9*LSPA) = 9504
_ds_store_b32 v[vgprLocalWriteAddrA], v[vgprG2LA+10] offset:10560 // lwoA_0_0_10_0 = (0*LSCA)*(MT0I+PAD) + (10*LSPA) = 10560
_ds_store_b32 v[vgprLocalWriteAddrA], v[vgprG2LA+11] offset:11616 // lwoA_0_0_11_0 = (0*LSCA)*(MT0I+PAD) + (11*LSPA) = 11616
_ds_store_b32 v[vgprLocalWriteAddrA], v[vgprG2LA+12] offset:12672 // lwoA_0_0_12_0 = (0*LSCA)*(MT0I+PAD) + (12*LSPA) = 12672
_ds_store_b32 v[vgprLocalWriteAddrA], v[vgprG2LA+13] offset:13728 // lwoA_0_0_13_0 = (0*LSCA)*(MT0I+PAD) + (13*LSPA) = 13728
_ds_store_b32 v[vgprLocalWriteAddrA], v[vgprG2LA+14] offset:14784 // lwoA_0_0_14_0 = (0*LSCA)*(MT0I+PAD) + (14*LSPA) = 14784
_ds_store_b32 v[vgprLocalWriteAddrA], v[vgprG2LA+15] offset:15840 // lwoA_0_0_15_0 = (0*LSCA)*(MT0I+PAD) + (15*LSPA) = 15840

/* local write b */
_ds_store_b128 v[vgprLocalWriteAddrB], v[vgprG2LB+0:vgprG2LB+0+3] offset:0 // lwoB_0_0_0_0 = (0*LSCB)*(MT1J+PAD) + (0*LSPB) = 0
_ds_store_b128 v[vgprLocalWriteAddrB], v[vgprG2LB+4:vgprG2LB+4+3] offset:4608 // lwoB_0_0_1_0 = (0*LSCB)*(MT1J+PAD) + (1*LSPB) = 4608
_ds_store_b128 v[vgprLocalWriteAddrB], v[vgprG2LB+8:vgprG2LB+8+3] offset:9216 // lwoB_0_0_2_0 = (0*LSCB)*(MT1J+PAD) + (2*LSPB) = 9216
_ds_store_b128 v[vgprLocalWriteAddrB], v[vgprG2LB+12:vgprG2LB+12+3] offset:13824 // lwoB_0_0_3_0 = (0*LSCB)*(MT1J+PAD) + (3*LSPB) = 13824


/* local write swap a */



/* local write swap b */


	;; [unrolled: 1-line block ×4, first 2 shown]
s_cmp_eq_u32 s[sgprLoopCounterL] 0x1               // PGR=2 but only 1 loop
s_cbranch_scc1 label_0012                          // PGR=2 but only 1 loop


_buffer_load_b32 v[vgprG2LA+0], v[vgprGlobalReadOffsetA+0], s[sgprSrdA:sgprSrdA+3], 0, offen offset:0 // G -> Reg 0_0_0_0
_buffer_load_b32 v[vgprG2LA+1], v[vgprGlobalReadOffsetA+0], s[sgprSrdA:sgprSrdA+3], s[sgprScalarGlobalReadOffsetA+0], offen offset:0 // G -> Reg 0_0_1_0
_buffer_load_b32 v[vgprG2LA+2], v[vgprGlobalReadOffsetA+0], s[sgprSrdA:sgprSrdA+3], s[sgprScalarGlobalReadOffsetA+1], offen offset:0 // G -> Reg 0_0_2_0
_buffer_load_b32 v[vgprG2LA+3], v[vgprGlobalReadOffsetA+0], s[sgprSrdA:sgprSrdA+3], s[sgprScalarGlobalReadOffsetA+2], offen offset:0 // G -> Reg 0_0_3_0
_buffer_load_b32 v[vgprG2LA+4], v[vgprGlobalReadOffsetA+0], s[sgprSrdA:sgprSrdA+3], s[sgprScalarGlobalReadOffsetA+3], offen offset:0 // G -> Reg 0_0_4_0
_buffer_load_b32 v[vgprG2LA+5], v[vgprGlobalReadOffsetA+0], s[sgprSrdA:sgprSrdA+3], s[sgprScalarGlobalReadOffsetA+4], offen offset:0 // G -> Reg 0_0_5_0
_buffer_load_b32 v[vgprG2LA+6], v[vgprGlobalReadOffsetA+0], s[sgprSrdA:sgprSrdA+3], s[sgprScalarGlobalReadOffsetA+5], offen offset:0 // G -> Reg 0_0_6_0
_buffer_load_b32 v[vgprG2LA+7], v[vgprGlobalReadOffsetA+0], s[sgprSrdA:sgprSrdA+3], s[sgprScalarGlobalReadOffsetA+6], offen offset:0 // G -> Reg 0_0_7_0
_buffer_load_b32 v[vgprG2LA+8], v[vgprGlobalReadOffsetA+0], s[sgprSrdA:sgprSrdA+3], s[sgprScalarGlobalReadOffsetA+7], offen offset:0 // G -> Reg 0_0_8_0
_buffer_load_b32 v[vgprG2LA+9], v[vgprGlobalReadOffsetA+0], s[sgprSrdA:sgprSrdA+3], s[sgprScalarGlobalReadOffsetA+8], offen offset:0 // G -> Reg 0_0_9_0
_buffer_load_b32 v[vgprG2LA+10], v[vgprGlobalReadOffsetA+0], s[sgprSrdA:sgprSrdA+3], s[sgprScalarGlobalReadOffsetA+9], offen offset:0 // G -> Reg 0_0_10_0
_buffer_load_b32 v[vgprG2LA+11], v[vgprGlobalReadOffsetA+0], s[sgprSrdA:sgprSrdA+3], s[sgprScalarGlobalReadOffsetA+10], offen offset:0 // G -> Reg 0_0_11_0
_buffer_load_b32 v[vgprG2LA+12], v[vgprGlobalReadOffsetA+0], s[sgprSrdA:sgprSrdA+3], s[sgprScalarGlobalReadOffsetA+11], offen offset:0 // G -> Reg 0_0_12_0
_buffer_load_b32 v[vgprG2LA+13], v[vgprGlobalReadOffsetA+0], s[sgprSrdA:sgprSrdA+3], s[sgprScalarGlobalReadOffsetA+12], offen offset:0 // G -> Reg 0_0_13_0
_buffer_load_b32 v[vgprG2LA+14], v[vgprGlobalReadOffsetA+0], s[sgprSrdA:sgprSrdA+3], s[sgprScalarGlobalReadOffsetA+13], offen offset:0 // G -> Reg 0_0_14_0
_buffer_load_b32 v[vgprG2LA+15], v[vgprGlobalReadOffsetA+0], s[sgprSrdA:sgprSrdA+3], s[sgprScalarGlobalReadOffsetA+14], offen offset:0 // G -> Reg 0_0_15_0


_buffer_load_b128 v[vgprG2LB+0:vgprG2LB+0+3], v[vgprGlobalReadOffsetB+0], s[sgprSrdB:sgprSrdB+3], 0, offen offset:0 // G -> Reg 0_0_0_0
_buffer_load_b128 v[vgprG2LB+4:vgprG2LB+4+3], v[vgprGlobalReadOffsetB+0], s[sgprSrdB:sgprSrdB+3], s[sgprScalarGlobalReadOffsetB+0], offen offset:0 // G -> Reg 0_0_1_0
_buffer_load_b128 v[vgprG2LB+8:vgprG2LB+8+3], v[vgprGlobalReadOffsetB+0], s[sgprSrdB:sgprSrdB+3], s[sgprScalarGlobalReadOffsetB+1], offen offset:0 // G -> Reg 0_0_2_0
_buffer_load_b128 v[vgprG2LB+12:vgprG2LB+12+3], v[vgprGlobalReadOffsetB+0], s[sgprSrdB:sgprSrdB+3], s[sgprScalarGlobalReadOffsetB+2], offen offset:0 // G -> Reg 0_0_3_0

label_0012:                                        // 

s_waitcnt lgkmcnt(0)                               // lgkmcnt=0 vmcnt=-10prefetch wait for local write

// Skip force waitcnt0
s_barrier //


/* local read prefetch a */

_ds_load_b64 v[vgprValuA_X0_I0+0:vgprValuA_X0_I0+0+1], v[vgprLocalReadAddrA] offset:0 // L -> Reg lro=0 swapByteOffset=0 ti=64 vIdx=0 rIdx=0 oIdx=0 buffer=0 iui=0
_ds_load_b64 v[vgprValuA_X0_I0+2:vgprValuA_X0_I0+2+1], v[vgprLocalReadAddrA] offset:64 // L -> Reg lro=0 swapByteOffset=0 ti=64 vIdx=0 rIdx=0 oIdx=0 buffer=0 iui=0
	;; [unrolled: 1-line block ×16, first 2 shown]


/* local read prefetch b */

_ds_load_b64 v[vgprValuB_X0_I0+0:vgprValuB_X0_I0+0+1], v[vgprLocalReadAddrB] offset:0 // L -> Reg lro=0 swapByteOffset=0 ti=64 vIdx=0 rIdx=0 oIdx=0 buffer=0 iui=0
_ds_load_b64 v[vgprValuB_X0_I0+2:vgprValuB_X0_I0+2+1], v[vgprLocalReadAddrB] offset:4608 // L -> Reg lro=0 swapByteOffset=0 ti=64 vIdx=1 rIdx=0 oIdx=0 buffer=0 iui=0
	;; [unrolled: 1-line block ×4, first 2 shown]


/* local read inc a */

/* N/A, lro->16 */
/* self.localReadDoCntA 1 self.localReadDoCntB 1 */


/* local read inc b */

/* N/A, lro->16 */
/* self.localReadDoCntA 1 self.localReadDoCntB 1 */


	;; [unrolled: 1-line block ×3, first 2 shown]
/******************************************/
/* Unrolled Loop(s) - Begin               */
/******************************************/

openLoopL_13:
s_cmp_eq_u32 s[sgprLoopCounterL], 0x1              // LoopCounterL < EndCounter
s_cbranch_scc1 label_0014                          // PGR=2 but only 1 loop, toPGR1
s_cmp_le_u32 s[sgprLoopCounterL], 0x2              // LoopCounterL < EndCounter
s_cbranch_scc1 LoopEndL_evenexit_4                 // do not enter LoopL
LoopBeginL_1:


/******************************************/
/* Unrolled Loop 1/2 - Begin              */
/******************************************/

label_0015: // LoopCopy1 


/* Begin Each Unroll: Check VGPR.checkin for INT8 LW */


	;; [unrolled: 1-line block ×3, first 2 shown]
/* iter 0 (reset local read pointers iteration)  (swap local read pointers iteration)  */

/*  grEndMfmaIndex:18, lwStartMfmaIndex:26, lwEndMfmaIndex:101  */
/*  numMfmaForLR:24, barrierMfmaIndex:103, LocalWritePerMfma:0.255 */
/*  mfmaIndex:0  */
s_waitcnt lgkmcnt(0)                               // lgkmcnt=0 vmcnt=-1wait for prior local read local write old=0, new=0 newLW=0 newLR=0
v_mfma_f32_16x16x16_bf16 a[0+0:3+0], v[vgprValuB_X0_I0+0+0+0:vgprValuB_X0_I0+0+0+0+1], v[vgprValuA_X0_I0+0+0+0:vgprValuA_X0_I0+0+0+0+1], a[0:3]
/*  mfmaIndex:1  */
_ds_load_b64 v[vgprValuA_X1_I0+0:vgprValuA_X1_I0+0+1], v[vgprLocalReadAddrA] offset:32 // L -> Reg lro=16 swapByteOffset=0 ti=64 vIdx=0 rIdx=0 oIdx=0 buffer=1 iui=0

/* global read inc A loopL */
s_cmp_eq_u32 s[sgprLoopCounterL], s[sgprStaggerUIter] // Is this the wrapIter?
v_mfma_f32_16x16x16_bf16 a[4+0:7+0], v[vgprValuB_X0_I0+0+0+0:vgprValuB_X0_I0+0+0+0+1], v[vgprValuA_X0_I0+2+0+0:vgprValuA_X0_I0+2+0+0+1], a[4:7]
/*  mfmaIndex:2  */
_ds_load_b64 v[vgprValuB_X1_I0+0:vgprValuB_X1_I0+0+1], v[vgprLocalReadAddrB] offset:32 // L -> Reg lro=16 swapByteOffset=0 ti=64 vIdx=0 rIdx=0 oIdx=0 buffer=1 iui=0
s_cselect_b32 s76, s[sgprWrapUA+0], s[sgprGlobalReadIncsA+0] // incLower <- ?
v_mfma_f32_16x16x16_bf16 a[8+0:11+0], v[vgprValuB_X0_I0+0+0+0:vgprValuB_X0_I0+0+0+0+1], v[vgprValuA_X0_I0+4+0+0:vgprValuA_X0_I0+4+0+0+1], a[8:11]
/*  mfmaIndex:3  */
_ds_load_b64 v[vgprValuA_X1_I0+2:vgprValuA_X1_I0+2+1], v[vgprLocalReadAddrA] offset:96 // L -> Reg lro=16 swapByteOffset=0 ti=64 vIdx=0 rIdx=0 oIdx=0 buffer=1 iui=0
s_cselect_b32 s77, s[sgprWrapUA+1], 0              // incUpper <- ?
v_mfma_f32_16x16x16_bf16 a[12+0:15+0], v[vgprValuB_X0_I0+0+0+0:vgprValuB_X0_I0+0+0+0+1], v[vgprValuA_X0_I0+6+0+0:vgprValuA_X0_I0+6+0+0+1], a[12:15]
/*  mfmaIndex:4  */
_ds_load_b64 v[vgprValuA_X1_I0+4:vgprValuA_X1_I0+4+1], v[vgprLocalReadAddrA] offset:160 // L -> Reg lro=16 swapByteOffset=0 ti=64 vIdx=0 rIdx=0 oIdx=0 buffer=1 iui=0
s_add_u32 s[sgprSrdA+0], s[sgprSrdA+0], s76        // gra SRD += inc(lower)
v_mfma_f32_16x16x16_bf16 a[16+0:19+0], v[vgprValuB_X0_I0+0+0+0:vgprValuB_X0_I0+0+0+0+1], v[vgprValuA_X0_I0+8+0+0:vgprValuA_X0_I0+8+0+0+1], a[16:19]
/*  mfmaIndex:5  */
_ds_load_b64 v[vgprValuA_X1_I0+6:vgprValuA_X1_I0+6+1], v[vgprLocalReadAddrA] offset:224 // L -> Reg lro=16 swapByteOffset=0 ti=64 vIdx=0 rIdx=0 oIdx=0 buffer=1 iui=0
s_addc_u32  s[sgprSrdA+1], s[sgprSrdA+1], s77      // gra SRD += inc(upper)
v_mfma_f32_16x16x16_bf16 a[20+0:23+0], v[vgprValuB_X0_I0+0+0+0:vgprValuB_X0_I0+0+0+0+1], v[vgprValuA_X0_I0+10+0+0:vgprValuA_X0_I0+10+0+0+1], a[20:23]
/*  mfmaIndex:6  */
_ds_load_b64 v[vgprValuA_X1_I0+8:vgprValuA_X1_I0+8+1], v[vgprLocalReadAddrA] offset:4256 // L -> Reg lro=16 swapByteOffset=0 ti=64 vIdx=1 rIdx=0 oIdx=0 buffer=1 iui=0
s_sub_u32 s[sgprShadowLimitA+0], s[sgprShadowLimitA+0], s76 // limit -= inc)
v_mfma_f32_16x16x16_bf16 a[24+0:27+0], v[vgprValuB_X0_I0+0+0+0:vgprValuB_X0_I0+0+0+0+1], v[vgprValuA_X0_I0+12+0+0:vgprValuA_X0_I0+12+0+0+1], a[24:27]
/*  mfmaIndex:7  */
_ds_load_b64 v[vgprValuA_X1_I0+10:vgprValuA_X1_I0+10+1], v[vgprLocalReadAddrA] offset:4320 // L -> Reg lro=16 swapByteOffset=0 ti=64 vIdx=1 rIdx=0 oIdx=0 buffer=1 iui=0
s_subb_u32 s[sgprShadowLimitA+1], s[sgprShadowLimitA+1], s77 // limit -= inc)
v_mfma_f32_16x16x16_bf16 a[28+0:31+0], v[vgprValuB_X0_I0+0+0+0:vgprValuB_X0_I0+0+0+0+1], v[vgprValuA_X0_I0+14+0+0:vgprValuA_X0_I0+14+0+0+1], a[28:31]
/*  mfmaIndex:8  */
_ds_load_b64 v[vgprValuA_X1_I0+12:vgprValuA_X1_I0+12+1], v[vgprLocalReadAddrA] offset:4384 // L -> Reg lro=16 swapByteOffset=0 ti=64 vIdx=1 rIdx=0 oIdx=0 buffer=1 iui=0
s_cmp_eq_u32 s[sgprShadowLimitA+1], 0              // are we within 2^32?
v_mfma_f32_16x16x16_bf16 a[32+0:35+0], v[vgprValuB_X0_I0+0+0+0:vgprValuB_X0_I0+0+0+0+1], v[vgprValuA_X0_I0+16+0+0:vgprValuA_X0_I0+16+0+0+1], a[32:35]
/*  mfmaIndex:9  */
_ds_load_b64 v[vgprValuA_X1_I0+14:vgprValuA_X1_I0+14+1], v[vgprLocalReadAddrA] offset:4448 // L -> Reg lro=16 swapByteOffset=0 ti=64 vIdx=1 rIdx=0 oIdx=0 buffer=1 iui=0
s_cselect_b32 s[sgprSrdA+2], s[sgprShadowLimitA+0], BufferLimitA // Move shadow to real if we are within 2^32
v_mfma_f32_16x16x16_bf16 a[36+0:39+0], v[vgprValuB_X0_I0+0+0+0:vgprValuB_X0_I0+0+0+0+1], v[vgprValuA_X0_I0+18+0+0:vgprValuA_X0_I0+18+0+0+1], a[36:39]
/*  mfmaIndex:10  */
_ds_load_b64 v[vgprValuA_X1_I0+16:vgprValuA_X1_I0+16+1], v[vgprLocalReadAddrA] offset:8480 // L -> Reg lro=16 swapByteOffset=0 ti=64 vIdx=2 rIdx=0 oIdx=0 buffer=1 iui=0

/* global read inc B loopL */
s_cmp_eq_u32 s[sgprLoopCounterL], s[sgprStaggerUIter] // Is this the wrapIter?
v_mfma_f32_16x16x16_bf16 a[40+0:43+0], v[vgprValuB_X0_I0+0+0+0:vgprValuB_X0_I0+0+0+0+1], v[vgprValuA_X0_I0+20+0+0:vgprValuA_X0_I0+20+0+0+1], a[40:43]
/*  mfmaIndex:11  */
_ds_load_b64 v[vgprValuA_X1_I0+18:vgprValuA_X1_I0+18+1], v[vgprLocalReadAddrA] offset:8544 // L -> Reg lro=16 swapByteOffset=0 ti=64 vIdx=2 rIdx=0 oIdx=0 buffer=1 iui=0
s_cselect_b32 s76, s[sgprWrapUB+0], s[sgprGlobalReadIncsB+0] // incLower <- ?
v_mfma_f32_16x16x16_bf16 a[44+0:47+0], v[vgprValuB_X0_I0+0+0+0:vgprValuB_X0_I0+0+0+0+1], v[vgprValuA_X0_I0+22+0+0:vgprValuA_X0_I0+22+0+0+1], a[44:47]
/*  mfmaIndex:12  */
_ds_load_b64 v[vgprValuA_X1_I0+20:vgprValuA_X1_I0+20+1], v[vgprLocalReadAddrA] offset:8608 // L -> Reg lro=16 swapByteOffset=0 ti=64 vIdx=2 rIdx=0 oIdx=0 buffer=1 iui=0
s_cselect_b32 s77, s[sgprWrapUB+1], 0              // incUpper <- ?
v_mfma_f32_16x16x16_bf16 a[48+0:51+0], v[vgprValuB_X0_I0+0+0+0:vgprValuB_X0_I0+0+0+0+1], v[vgprValuA_X0_I0+24+0+0:vgprValuA_X0_I0+24+0+0+1], a[48:51]
/*  mfmaIndex:13  */
_ds_load_b64 v[vgprValuA_X1_I0+22:vgprValuA_X1_I0+22+1], v[vgprLocalReadAddrA] offset:8672 // L -> Reg lro=16 swapByteOffset=0 ti=64 vIdx=2 rIdx=0 oIdx=0 buffer=1 iui=0
s_add_u32 s[sgprSrdB+0], s[sgprSrdB+0], s76        // gra SRD += inc(lower)
v_mfma_f32_16x16x16_bf16 a[52+0:55+0], v[vgprValuB_X0_I0+0+0+0:vgprValuB_X0_I0+0+0+0+1], v[vgprValuA_X0_I0+26+0+0:vgprValuA_X0_I0+26+0+0+1], a[52:55]
/*  mfmaIndex:14  */
_ds_load_b64 v[vgprValuA_X1_I0+24:vgprValuA_X1_I0+24+1], v[vgprLocalReadAddrA] offset:12704 // L -> Reg lro=16 swapByteOffset=0 ti=64 vIdx=3 rIdx=0 oIdx=0 buffer=1 iui=0
s_addc_u32  s[sgprSrdB+1], s[sgprSrdB+1], s77      // gra SRD += inc(upper)
v_mfma_f32_16x16x16_bf16 a[56+0:59+0], v[vgprValuB_X0_I0+0+0+0:vgprValuB_X0_I0+0+0+0+1], v[vgprValuA_X0_I0+28+0+0:vgprValuA_X0_I0+28+0+0+1], a[56:59]
/*  mfmaIndex:15  */
_ds_load_b64 v[vgprValuA_X1_I0+26:vgprValuA_X1_I0+26+1], v[vgprLocalReadAddrA] offset:12768 // L -> Reg lro=16 swapByteOffset=0 ti=64 vIdx=3 rIdx=0 oIdx=0 buffer=1 iui=0
s_sub_u32 s[sgprShadowLimitB+0], s[sgprShadowLimitB+0], s76 // limit -= inc)
v_mfma_f32_16x16x16_bf16 a[60+0:63+0], v[vgprValuB_X0_I0+0+0+0:vgprValuB_X0_I0+0+0+0+1], v[vgprValuA_X0_I0+30+0+0:vgprValuA_X0_I0+30+0+0+1], a[60:63]
/*  mfmaIndex:16  */
_ds_load_b64 v[vgprValuA_X1_I0+28:vgprValuA_X1_I0+28+1], v[vgprLocalReadAddrA] offset:12832 // L -> Reg lro=16 swapByteOffset=0 ti=64 vIdx=3 rIdx=0 oIdx=0 buffer=1 iui=0
s_subb_u32 s[sgprShadowLimitB+1], s[sgprShadowLimitB+1], s77 // limit -= inc)
v_mfma_f32_16x16x16_bf16 a[124+0:127+0], v[vgprValuB_X0_I0+2+0+0:vgprValuB_X0_I0+2+0+0+1], v[vgprValuA_X0_I0+30+0+0:vgprValuA_X0_I0+30+0+0+1], a[124:127]
/*  mfmaIndex:17  */
_ds_load_b64 v[vgprValuA_X1_I0+30:vgprValuA_X1_I0+30+1], v[vgprLocalReadAddrA] offset:12896 // L -> Reg lro=16 swapByteOffset=0 ti=64 vIdx=3 rIdx=0 oIdx=0 buffer=1 iui=0
s_cmp_eq_u32 s[sgprShadowLimitB+1], 0              // are we within 2^32?
v_mfma_f32_16x16x16_bf16 a[120+0:123+0], v[vgprValuB_X0_I0+2+0+0:vgprValuB_X0_I0+2+0+0+1], v[vgprValuA_X0_I0+28+0+0:vgprValuA_X0_I0+28+0+0+1], a[120:123]
/*  mfmaIndex:18  */
_ds_load_b64 v[vgprValuB_X1_I0+2:vgprValuB_X1_I0+2+1], v[vgprLocalReadAddrB] offset:4640 // L -> Reg lro=16 swapByteOffset=0 ti=64 vIdx=1 rIdx=0 oIdx=0 buffer=1 iui=0
s_cselect_b32 s[sgprSrdB+2], s[sgprShadowLimitB+0], BufferLimitB // Move shadow to real if we are within 2^32
v_mfma_f32_16x16x16_bf16 a[116+0:119+0], v[vgprValuB_X0_I0+2+0+0:vgprValuB_X0_I0+2+0+0+1], v[vgprValuA_X0_I0+26+0+0:vgprValuA_X0_I0+26+0+0+1], a[116:119]
/*  mfmaIndex:19  */
_ds_load_b64 v[vgprValuB_X1_I0+4:vgprValuB_X1_I0+4+1], v[vgprLocalReadAddrB] offset:9248 // L -> Reg lro=16 swapByteOffset=0 ti=64 vIdx=2 rIdx=0 oIdx=0 buffer=1 iui=0
v_mfma_f32_16x16x16_bf16 a[112+0:115+0], v[vgprValuB_X0_I0+2+0+0:vgprValuB_X0_I0+2+0+0+1], v[vgprValuA_X0_I0+24+0+0:vgprValuA_X0_I0+24+0+0+1], a[112:115]
/*  mfmaIndex:20  */
_ds_load_b64 v[vgprValuB_X1_I0+6:vgprValuB_X1_I0+6+1], v[vgprLocalReadAddrB] offset:13856 // L -> Reg lro=16 swapByteOffset=0 ti=64 vIdx=3 rIdx=0 oIdx=0 buffer=1 iui=0
v_mfma_f32_16x16x16_bf16 a[108+0:111+0], v[vgprValuB_X0_I0+2+0+0:vgprValuB_X0_I0+2+0+0+1], v[vgprValuA_X0_I0+22+0+0:vgprValuA_X0_I0+22+0+0+1], a[108:111]
/*  mfmaIndex:21  */
/* localReadsVacancy: latencyLeft 2 */
v_mfma_f32_16x16x16_bf16 a[104+0:107+0], v[vgprValuB_X0_I0+2+0+0:vgprValuB_X0_I0+2+0+0+1], v[vgprValuA_X0_I0+20+0+0:vgprValuA_X0_I0+20+0+0+1], a[104:107]
/*  mfmaIndex:22  */
/* localReadsVacancy: latencyLeft 2 */
	;; [unrolled: 3-line block ×5, first 2 shown]
/* 1 LDS buffer: read-sync-write */
s_waitcnt lgkmcnt(0)                               // 
s_barrier                                          // 
v_mfma_f32_16x16x16_bf16 a[88+0:91+0], v[vgprValuB_X0_I0+2+0+0:vgprValuB_X0_I0+2+0+0+1], v[vgprValuA_X0_I0+12+0+0:vgprValuA_X0_I0+12+0+0+1], a[88:91]
/*  mfmaIndex:26  */
s_setprio 3                                        // store optimization
/* sched write - iter 0 writesPerItem=1 */
s_waitcnt vmcnt(0)                                 // lgkmcnt=-1 vmcnt=0wait for global read before writing to local
_ds_store_b32 v[vgprLocalWriteAddrA], v[vgprG2LA+0] offset:0 // lwoA_0_0_0_0 = (0*LSCA)*(MT0I+PAD) + (0*LSPA) = 0
v_mfma_f32_16x16x16_bf16 a[84+0:87+0], v[vgprValuB_X0_I0+2+0+0:vgprValuB_X0_I0+2+0+0+1], v[vgprValuA_X0_I0+10+0+0:vgprValuA_X0_I0+10+0+0+1], a[84:87]
/*  mfmaIndex:27  */
_buffer_load_b32 v[vgprG2LA+0], v[vgprGlobalReadOffsetA+0], s[sgprSrdA:sgprSrdA+3], 0, offen offset:0 // G -> Reg 0_0_0_0
v_mfma_f32_16x16x16_bf16 a[80+0:83+0], v[vgprValuB_X0_I0+2+0+0:vgprValuB_X0_I0+2+0+0+1], v[vgprValuA_X0_I0+8+0+0:vgprValuA_X0_I0+8+0+0+1], a[80:83]
/*  mfmaIndex:28  */
v_mfma_f32_16x16x16_bf16 a[76+0:79+0], v[vgprValuB_X0_I0+2+0+0:vgprValuB_X0_I0+2+0+0+1], v[vgprValuA_X0_I0+6+0+0:vgprValuA_X0_I0+6+0+0+1], a[76:79]
/*  mfmaIndex:29  */
/* sched write - iter 0 writesPerItem=1 */
s_waitcnt vmcnt(0)                                 // lgkmcnt=-1 vmcnt=0wait for global read before writing to local
_ds_store_b32 v[vgprLocalWriteAddrA], v[vgprG2LA+1] offset:1056 // lwoA_0_0_1_0 = (0*LSCA)*(MT0I+PAD) + (1*LSPA) = 1056
v_mfma_f32_16x16x16_bf16 a[72+0:75+0], v[vgprValuB_X0_I0+2+0+0:vgprValuB_X0_I0+2+0+0+1], v[vgprValuA_X0_I0+4+0+0:vgprValuA_X0_I0+4+0+0+1], a[72:75]
/*  mfmaIndex:30  */
_buffer_load_b32 v[vgprG2LA+1], v[vgprGlobalReadOffsetA+0], s[sgprSrdA:sgprSrdA+3], s[sgprScalarGlobalReadOffsetA+0], offen offset:0 // G -> Reg 0_0_1_0
v_mfma_f32_16x16x16_bf16 a[68+0:71+0], v[vgprValuB_X0_I0+2+0+0:vgprValuB_X0_I0+2+0+0+1], v[vgprValuA_X0_I0+2+0+0:vgprValuA_X0_I0+2+0+0+1], a[68:71]
/*  mfmaIndex:31  */
v_mfma_f32_16x16x16_bf16 a[64+0:67+0], v[vgprValuB_X0_I0+2+0+0:vgprValuB_X0_I0+2+0+0+1], v[vgprValuA_X0_I0+0+0+0:vgprValuA_X0_I0+0+0+0+1], a[64:67]
/*  mfmaIndex:32  */
	;; [unrolled: 2-line block ×3, first 2 shown]
/* sched write - iter 0 writesPerItem=1 */
s_waitcnt vmcnt(0)                                 // lgkmcnt=-1 vmcnt=0wait for global read before writing to local
_ds_store_b32 v[vgprLocalWriteAddrA], v[vgprG2LA+2] offset:2112 // lwoA_0_0_2_0 = (0*LSCA)*(MT0I+PAD) + (2*LSPA) = 2112
v_mfma_f32_16x16x16_bf16 a[132+0:135+0], v[vgprValuB_X0_I0+4+0+0:vgprValuB_X0_I0+4+0+0+1], v[vgprValuA_X0_I0+2+0+0:vgprValuA_X0_I0+2+0+0+1], a[132:135]
/*  mfmaIndex:34  */
_buffer_load_b32 v[vgprG2LA+2], v[vgprGlobalReadOffsetA+0], s[sgprSrdA:sgprSrdA+3], s[sgprScalarGlobalReadOffsetA+1], offen offset:0 // G -> Reg 0_0_2_0
v_mfma_f32_16x16x16_bf16 a[136+0:139+0], v[vgprValuB_X0_I0+4+0+0:vgprValuB_X0_I0+4+0+0+1], v[vgprValuA_X0_I0+4+0+0:vgprValuA_X0_I0+4+0+0+1], a[136:139]
/*  mfmaIndex:35  */
v_mfma_f32_16x16x16_bf16 a[140+0:143+0], v[vgprValuB_X0_I0+4+0+0:vgprValuB_X0_I0+4+0+0+1], v[vgprValuA_X0_I0+6+0+0:vgprValuA_X0_I0+6+0+0+1], a[140:143]
/*  mfmaIndex:36  */
	;; [unrolled: 2-line block ×3, first 2 shown]
/* sched write - iter 0 writesPerItem=1 */
s_waitcnt vmcnt(0)                                 // lgkmcnt=-1 vmcnt=0wait for global read before writing to local
_ds_store_b32 v[vgprLocalWriteAddrA], v[vgprG2LA+3] offset:3168 // lwoA_0_0_3_0 = (0*LSCA)*(MT0I+PAD) + (3*LSPA) = 3168
v_mfma_f32_16x16x16_bf16 a[148+0:151+0], v[vgprValuB_X0_I0+4+0+0:vgprValuB_X0_I0+4+0+0+1], v[vgprValuA_X0_I0+10+0+0:vgprValuA_X0_I0+10+0+0+1], a[148:151]
/*  mfmaIndex:38  */
_buffer_load_b32 v[vgprG2LA+3], v[vgprGlobalReadOffsetA+0], s[sgprSrdA:sgprSrdA+3], s[sgprScalarGlobalReadOffsetA+2], offen offset:0 // G -> Reg 0_0_3_0
v_mfma_f32_16x16x16_bf16 a[152+0:155+0], v[vgprValuB_X0_I0+4+0+0:vgprValuB_X0_I0+4+0+0+1], v[vgprValuA_X0_I0+12+0+0:vgprValuA_X0_I0+12+0+0+1], a[152:155]
/*  mfmaIndex:39  */
v_mfma_f32_16x16x16_bf16 a[156+0:159+0], v[vgprValuB_X0_I0+4+0+0:vgprValuB_X0_I0+4+0+0+1], v[vgprValuA_X0_I0+14+0+0:vgprValuA_X0_I0+14+0+0+1], a[156:159]
/*  mfmaIndex:40  */
	;; [unrolled: 2-line block ×3, first 2 shown]
/* sched write - iter 0 writesPerItem=1 */
s_waitcnt vmcnt(0)                                 // lgkmcnt=-1 vmcnt=0wait for global read before writing to local
_ds_store_b32 v[vgprLocalWriteAddrA], v[vgprG2LA+4] offset:4224 // lwoA_0_0_4_0 = (0*LSCA)*(MT0I+PAD) + (4*LSPA) = 4224
v_mfma_f32_16x16x16_bf16 a[164+0:167+0], v[vgprValuB_X0_I0+4+0+0:vgprValuB_X0_I0+4+0+0+1], v[vgprValuA_X0_I0+18+0+0:vgprValuA_X0_I0+18+0+0+1], a[164:167]
/*  mfmaIndex:42  */
_buffer_load_b32 v[vgprG2LA+4], v[vgprGlobalReadOffsetA+0], s[sgprSrdA:sgprSrdA+3], s[sgprScalarGlobalReadOffsetA+3], offen offset:0 // G -> Reg 0_0_4_0
v_mfma_f32_16x16x16_bf16 a[168+0:171+0], v[vgprValuB_X0_I0+4+0+0:vgprValuB_X0_I0+4+0+0+1], v[vgprValuA_X0_I0+20+0+0:vgprValuA_X0_I0+20+0+0+1], a[168:171]
/*  mfmaIndex:43  */
v_mfma_f32_16x16x16_bf16 a[172+0:175+0], v[vgprValuB_X0_I0+4+0+0:vgprValuB_X0_I0+4+0+0+1], v[vgprValuA_X0_I0+22+0+0:vgprValuA_X0_I0+22+0+0+1], a[172:175]
/*  mfmaIndex:44  */
v_mfma_f32_16x16x16_bf16 a[176+0:179+0], v[vgprValuB_X0_I0+4+0+0:vgprValuB_X0_I0+4+0+0+1], v[vgprValuA_X0_I0+24+0+0:vgprValuA_X0_I0+24+0+0+1], a[176:179]
/*  mfmaIndex:45  */
/* sched write - iter 0 writesPerItem=1 */
s_waitcnt vmcnt(0)                                 // lgkmcnt=-1 vmcnt=0wait for global read before writing to local
_ds_store_b32 v[vgprLocalWriteAddrA], v[vgprG2LA+5] offset:5280 // lwoA_0_0_5_0 = (0*LSCA)*(MT0I+PAD) + (5*LSPA) = 5280
v_mfma_f32_16x16x16_bf16 a[180+0:183+0], v[vgprValuB_X0_I0+4+0+0:vgprValuB_X0_I0+4+0+0+1], v[vgprValuA_X0_I0+26+0+0:vgprValuA_X0_I0+26+0+0+1], a[180:183]
/*  mfmaIndex:46  */
_buffer_load_b32 v[vgprG2LA+5], v[vgprGlobalReadOffsetA+0], s[sgprSrdA:sgprSrdA+3], s[sgprScalarGlobalReadOffsetA+4], offen offset:0 // G -> Reg 0_0_5_0
v_mfma_f32_16x16x16_bf16 a[184+0:187+0], v[vgprValuB_X0_I0+4+0+0:vgprValuB_X0_I0+4+0+0+1], v[vgprValuA_X0_I0+28+0+0:vgprValuA_X0_I0+28+0+0+1], a[184:187]
/*  mfmaIndex:47  */
v_mfma_f32_16x16x16_bf16 a[188+0:191+0], v[vgprValuB_X0_I0+4+0+0:vgprValuB_X0_I0+4+0+0+1], v[vgprValuA_X0_I0+30+0+0:vgprValuA_X0_I0+30+0+0+1], a[188:191]
/*  mfmaIndex:48  */
	;; [unrolled: 2-line block ×3, first 2 shown]
/* sched write - iter 0 writesPerItem=1 */
s_waitcnt vmcnt(0)                                 // lgkmcnt=-1 vmcnt=0wait for global read before writing to local
_ds_store_b32 v[vgprLocalWriteAddrA], v[vgprG2LA+6] offset:6336 // lwoA_0_0_6_0 = (0*LSCA)*(MT0I+PAD) + (6*LSPA) = 6336
v_mfma_f32_16x16x16_bf16 a[248+0:251+0], v[vgprValuB_X0_I0+6+0+0:vgprValuB_X0_I0+6+0+0+1], v[vgprValuA_X0_I0+28+0+0:vgprValuA_X0_I0+28+0+0+1], a[248:251]
/*  mfmaIndex:50  */
_buffer_load_b32 v[vgprG2LA+6], v[vgprGlobalReadOffsetA+0], s[sgprSrdA:sgprSrdA+3], s[sgprScalarGlobalReadOffsetA+5], offen offset:0 // G -> Reg 0_0_6_0
v_mfma_f32_16x16x16_bf16 a[244+0:247+0], v[vgprValuB_X0_I0+6+0+0:vgprValuB_X0_I0+6+0+0+1], v[vgprValuA_X0_I0+26+0+0:vgprValuA_X0_I0+26+0+0+1], a[244:247]
/*  mfmaIndex:51  */
v_mfma_f32_16x16x16_bf16 a[240+0:243+0], v[vgprValuB_X0_I0+6+0+0:vgprValuB_X0_I0+6+0+0+1], v[vgprValuA_X0_I0+24+0+0:vgprValuA_X0_I0+24+0+0+1], a[240:243]
/*  mfmaIndex:52  */
	;; [unrolled: 2-line block ×3, first 2 shown]
/* sched write - iter 0 writesPerItem=1 */
s_waitcnt vmcnt(0)                                 // lgkmcnt=-1 vmcnt=0wait for global read before writing to local
_ds_store_b32 v[vgprLocalWriteAddrA], v[vgprG2LA+7] offset:7392 // lwoA_0_0_7_0 = (0*LSCA)*(MT0I+PAD) + (7*LSPA) = 7392
v_mfma_f32_16x16x16_bf16 a[232+0:235+0], v[vgprValuB_X0_I0+6+0+0:vgprValuB_X0_I0+6+0+0+1], v[vgprValuA_X0_I0+20+0+0:vgprValuA_X0_I0+20+0+0+1], a[232:235]
/*  mfmaIndex:54  */
_buffer_load_b32 v[vgprG2LA+7], v[vgprGlobalReadOffsetA+0], s[sgprSrdA:sgprSrdA+3], s[sgprScalarGlobalReadOffsetA+6], offen offset:0 // G -> Reg 0_0_7_0
v_mfma_f32_16x16x16_bf16 a[228+0:231+0], v[vgprValuB_X0_I0+6+0+0:vgprValuB_X0_I0+6+0+0+1], v[vgprValuA_X0_I0+18+0+0:vgprValuA_X0_I0+18+0+0+1], a[228:231]
/*  mfmaIndex:55  */
v_mfma_f32_16x16x16_bf16 a[224+0:227+0], v[vgprValuB_X0_I0+6+0+0:vgprValuB_X0_I0+6+0+0+1], v[vgprValuA_X0_I0+16+0+0:vgprValuA_X0_I0+16+0+0+1], a[224:227]
/*  mfmaIndex:56  */
	;; [unrolled: 2-line block ×3, first 2 shown]
/* sched write - iter 0 writesPerItem=1 */
s_waitcnt vmcnt(0)                                 // lgkmcnt=-1 vmcnt=0wait for global read before writing to local
_ds_store_b32 v[vgprLocalWriteAddrA], v[vgprG2LA+8] offset:8448 // lwoA_0_0_8_0 = (0*LSCA)*(MT0I+PAD) + (8*LSPA) = 8448
v_mfma_f32_16x16x16_bf16 a[216+0:219+0], v[vgprValuB_X0_I0+6+0+0:vgprValuB_X0_I0+6+0+0+1], v[vgprValuA_X0_I0+12+0+0:vgprValuA_X0_I0+12+0+0+1], a[216:219]
/*  mfmaIndex:58  */
_buffer_load_b32 v[vgprG2LA+8], v[vgprGlobalReadOffsetA+0], s[sgprSrdA:sgprSrdA+3], s[sgprScalarGlobalReadOffsetA+7], offen offset:0 // G -> Reg 0_0_8_0
v_mfma_f32_16x16x16_bf16 a[212+0:215+0], v[vgprValuB_X0_I0+6+0+0:vgprValuB_X0_I0+6+0+0+1], v[vgprValuA_X0_I0+10+0+0:vgprValuA_X0_I0+10+0+0+1], a[212:215]
/*  mfmaIndex:59  */
v_mfma_f32_16x16x16_bf16 a[208+0:211+0], v[vgprValuB_X0_I0+6+0+0:vgprValuB_X0_I0+6+0+0+1], v[vgprValuA_X0_I0+8+0+0:vgprValuA_X0_I0+8+0+0+1], a[208:211]
/*  mfmaIndex:60  */
	;; [unrolled: 2-line block ×3, first 2 shown]
/* sched write - iter 0 writesPerItem=1 */
s_waitcnt vmcnt(0)                                 // lgkmcnt=-1 vmcnt=0wait for global read before writing to local
_ds_store_b32 v[vgprLocalWriteAddrA], v[vgprG2LA+9] offset:9504 // lwoA_0_0_9_0 = (0*LSCA)*(MT0I+PAD) + (9*LSPA) = 9504
v_mfma_f32_16x16x16_bf16 a[200+0:203+0], v[vgprValuB_X0_I0+6+0+0:vgprValuB_X0_I0+6+0+0+1], v[vgprValuA_X0_I0+4+0+0:vgprValuA_X0_I0+4+0+0+1], a[200:203]
/*  mfmaIndex:62  */
_buffer_load_b32 v[vgprG2LA+9], v[vgprGlobalReadOffsetA+0], s[sgprSrdA:sgprSrdA+3], s[sgprScalarGlobalReadOffsetA+8], offen offset:0 // G -> Reg 0_0_9_0
v_mfma_f32_16x16x16_bf16 a[196+0:199+0], v[vgprValuB_X0_I0+6+0+0:vgprValuB_X0_I0+6+0+0+1], v[vgprValuA_X0_I0+2+0+0:vgprValuA_X0_I0+2+0+0+1], a[196:199]
/*  mfmaIndex:63  */

/* local read swap offsets a */

/* local read swap offsets b */

/* local read init pointers a */

/* localReadInitPointers */

/* local read init pointers b */

/* localReadInitPointers */
v_mfma_f32_16x16x16_bf16 a[192+0:195+0], v[vgprValuB_X0_I0+6+0+0:vgprValuB_X0_I0+6+0+0+1], v[vgprValuA_X0_I0+0+0+0:vgprValuA_X0_I0+0+0+0+1], a[192:195]
/* numPrefetchIter=0 */
/* dataAtIterA=-1 numReadsIterA=1 skipReadsIterA=1 readsPerIterA=16 */
/* dataAtIterB=-1 numReadsIterB=1 skipReadsIterB=1 readsPerIterB=4 */


/* iter 1 (swap and reset local write pointers iteration)  */

/*  grEndMfmaIndex:18, lwStartMfmaIndex:26, lwEndMfmaIndex:101  */
/*  numMfmaForLR:24, barrierMfmaIndex:103, LocalWritePerMfma:0.255 */
/*  mfmaIndex:64  */
v_mfma_f32_16x16x16_bf16 a[0+0:3+0], v[vgprValuB_X1_I0+0+0+0:vgprValuB_X1_I0+0+0+0+1], v[vgprValuA_X1_I0+0+0+0:vgprValuA_X1_I0+0+0+0+1], a[0:3]
/*  mfmaIndex:65  */
/* sched write - iter 1 writesPerItem=1 */
s_waitcnt vmcnt(0)                                 // lgkmcnt=-1 vmcnt=0wait for global read before writing to local
_ds_store_b32 v[vgprLocalWriteAddrA], v[vgprG2LA+10] offset:10560 // lwoA_0_0_10_0 = (0*LSCA)*(MT0I+PAD) + (10*LSPA) = 10560
v_mfma_f32_16x16x16_bf16 a[4+0:7+0], v[vgprValuB_X1_I0+0+0+0:vgprValuB_X1_I0+0+0+0+1], v[vgprValuA_X1_I0+2+0+0:vgprValuA_X1_I0+2+0+0+1], a[4:7]
/*  mfmaIndex:66  */
_buffer_load_b32 v[vgprG2LA+10], v[vgprGlobalReadOffsetA+0], s[sgprSrdA:sgprSrdA+3], s[sgprScalarGlobalReadOffsetA+9], offen offset:0 // G -> Reg 0_0_10_0
v_mfma_f32_16x16x16_bf16 a[8+0:11+0], v[vgprValuB_X1_I0+0+0+0:vgprValuB_X1_I0+0+0+0+1], v[vgprValuA_X1_I0+4+0+0:vgprValuA_X1_I0+4+0+0+1], a[8:11]
/*  mfmaIndex:67  */
v_mfma_f32_16x16x16_bf16 a[12+0:15+0], v[vgprValuB_X1_I0+0+0+0:vgprValuB_X1_I0+0+0+0+1], v[vgprValuA_X1_I0+6+0+0:vgprValuA_X1_I0+6+0+0+1], a[12:15]
/*  mfmaIndex:68  */
	;; [unrolled: 2-line block ×3, first 2 shown]
/* sched write - iter 1 writesPerItem=1 */
s_waitcnt vmcnt(0)                                 // lgkmcnt=-1 vmcnt=0wait for global read before writing to local
_ds_store_b32 v[vgprLocalWriteAddrA], v[vgprG2LA+11] offset:11616 // lwoA_0_0_11_0 = (0*LSCA)*(MT0I+PAD) + (11*LSPA) = 11616
v_mfma_f32_16x16x16_bf16 a[20+0:23+0], v[vgprValuB_X1_I0+0+0+0:vgprValuB_X1_I0+0+0+0+1], v[vgprValuA_X1_I0+10+0+0:vgprValuA_X1_I0+10+0+0+1], a[20:23]
/*  mfmaIndex:70  */
_buffer_load_b32 v[vgprG2LA+11], v[vgprGlobalReadOffsetA+0], s[sgprSrdA:sgprSrdA+3], s[sgprScalarGlobalReadOffsetA+10], offen offset:0 // G -> Reg 0_0_11_0
v_mfma_f32_16x16x16_bf16 a[24+0:27+0], v[vgprValuB_X1_I0+0+0+0:vgprValuB_X1_I0+0+0+0+1], v[vgprValuA_X1_I0+12+0+0:vgprValuA_X1_I0+12+0+0+1], a[24:27]
/*  mfmaIndex:71  */
v_mfma_f32_16x16x16_bf16 a[28+0:31+0], v[vgprValuB_X1_I0+0+0+0:vgprValuB_X1_I0+0+0+0+1], v[vgprValuA_X1_I0+14+0+0:vgprValuA_X1_I0+14+0+0+1], a[28:31]
/*  mfmaIndex:72  */
v_mfma_f32_16x16x16_bf16 a[32+0:35+0], v[vgprValuB_X1_I0+0+0+0:vgprValuB_X1_I0+0+0+0+1], v[vgprValuA_X1_I0+16+0+0:vgprValuA_X1_I0+16+0+0+1], a[32:35]
/*  mfmaIndex:73  */
/* sched write - iter 1 writesPerItem=1 */
s_waitcnt vmcnt(0)                                 // lgkmcnt=-1 vmcnt=0wait for global read before writing to local
_ds_store_b32 v[vgprLocalWriteAddrA], v[vgprG2LA+12] offset:12672 // lwoA_0_0_12_0 = (0*LSCA)*(MT0I+PAD) + (12*LSPA) = 12672
v_mfma_f32_16x16x16_bf16 a[36+0:39+0], v[vgprValuB_X1_I0+0+0+0:vgprValuB_X1_I0+0+0+0+1], v[vgprValuA_X1_I0+18+0+0:vgprValuA_X1_I0+18+0+0+1], a[36:39]
/*  mfmaIndex:74  */
_buffer_load_b32 v[vgprG2LA+12], v[vgprGlobalReadOffsetA+0], s[sgprSrdA:sgprSrdA+3], s[sgprScalarGlobalReadOffsetA+11], offen offset:0 // G -> Reg 0_0_12_0
v_mfma_f32_16x16x16_bf16 a[40+0:43+0], v[vgprValuB_X1_I0+0+0+0:vgprValuB_X1_I0+0+0+0+1], v[vgprValuA_X1_I0+20+0+0:vgprValuA_X1_I0+20+0+0+1], a[40:43]
/*  mfmaIndex:75  */
v_mfma_f32_16x16x16_bf16 a[44+0:47+0], v[vgprValuB_X1_I0+0+0+0:vgprValuB_X1_I0+0+0+0+1], v[vgprValuA_X1_I0+22+0+0:vgprValuA_X1_I0+22+0+0+1], a[44:47]
/*  mfmaIndex:76  */
/* sched write - iter 1 writesPerItem=1 */
s_waitcnt vmcnt(0)                                 // lgkmcnt=-1 vmcnt=0wait for global read before writing to local
_ds_store_b32 v[vgprLocalWriteAddrA], v[vgprG2LA+13] offset:13728 // lwoA_0_0_13_0 = (0*LSCA)*(MT0I+PAD) + (13*LSPA) = 13728
v_mfma_f32_16x16x16_bf16 a[48+0:51+0], v[vgprValuB_X1_I0+0+0+0:vgprValuB_X1_I0+0+0+0+1], v[vgprValuA_X1_I0+24+0+0:vgprValuA_X1_I0+24+0+0+1], a[48:51]
/*  mfmaIndex:77  */
_buffer_load_b32 v[vgprG2LA+13], v[vgprGlobalReadOffsetA+0], s[sgprSrdA:sgprSrdA+3], s[sgprScalarGlobalReadOffsetA+12], offen offset:0 // G -> Reg 0_0_13_0
v_mfma_f32_16x16x16_bf16 a[52+0:55+0], v[vgprValuB_X1_I0+0+0+0:vgprValuB_X1_I0+0+0+0+1], v[vgprValuA_X1_I0+26+0+0:vgprValuA_X1_I0+26+0+0+1], a[52:55]
/*  mfmaIndex:78  */
v_mfma_f32_16x16x16_bf16 a[56+0:59+0], v[vgprValuB_X1_I0+0+0+0:vgprValuB_X1_I0+0+0+0+1], v[vgprValuA_X1_I0+28+0+0:vgprValuA_X1_I0+28+0+0+1], a[56:59]
/*  mfmaIndex:79  */
	;; [unrolled: 2-line block ×3, first 2 shown]
/* sched write - iter 1 writesPerItem=1 */
s_waitcnt vmcnt(0)                                 // lgkmcnt=-1 vmcnt=0wait for global read before writing to local
_ds_store_b32 v[vgprLocalWriteAddrA], v[vgprG2LA+14] offset:14784 // lwoA_0_0_14_0 = (0*LSCA)*(MT0I+PAD) + (14*LSPA) = 14784
v_mfma_f32_16x16x16_bf16 a[124+0:127+0], v[vgprValuB_X1_I0+2+0+0:vgprValuB_X1_I0+2+0+0+1], v[vgprValuA_X1_I0+30+0+0:vgprValuA_X1_I0+30+0+0+1], a[124:127]
/*  mfmaIndex:81  */
_buffer_load_b32 v[vgprG2LA+14], v[vgprGlobalReadOffsetA+0], s[sgprSrdA:sgprSrdA+3], s[sgprScalarGlobalReadOffsetA+13], offen offset:0 // G -> Reg 0_0_14_0
v_mfma_f32_16x16x16_bf16 a[120+0:123+0], v[vgprValuB_X1_I0+2+0+0:vgprValuB_X1_I0+2+0+0+1], v[vgprValuA_X1_I0+28+0+0:vgprValuA_X1_I0+28+0+0+1], a[120:123]
/*  mfmaIndex:82  */
v_mfma_f32_16x16x16_bf16 a[116+0:119+0], v[vgprValuB_X1_I0+2+0+0:vgprValuB_X1_I0+2+0+0+1], v[vgprValuA_X1_I0+26+0+0:vgprValuA_X1_I0+26+0+0+1], a[116:119]
/*  mfmaIndex:83  */
v_mfma_f32_16x16x16_bf16 a[112+0:115+0], v[vgprValuB_X1_I0+2+0+0:vgprValuB_X1_I0+2+0+0+1], v[vgprValuA_X1_I0+24+0+0:vgprValuA_X1_I0+24+0+0+1], a[112:115]
/*  mfmaIndex:84  */
/* sched write - iter 1 writesPerItem=1 */
s_waitcnt vmcnt(0)                                 // lgkmcnt=-1 vmcnt=0wait for global read before writing to local
_ds_store_b32 v[vgprLocalWriteAddrA], v[vgprG2LA+15] offset:15840 // lwoA_0_0_15_0 = (0*LSCA)*(MT0I+PAD) + (15*LSPA) = 15840
v_mfma_f32_16x16x16_bf16 a[108+0:111+0], v[vgprValuB_X1_I0+2+0+0:vgprValuB_X1_I0+2+0+0+1], v[vgprValuA_X1_I0+22+0+0:vgprValuA_X1_I0+22+0+0+1], a[108:111]
/*  mfmaIndex:85  */
_buffer_load_b32 v[vgprG2LA+15], v[vgprGlobalReadOffsetA+0], s[sgprSrdA:sgprSrdA+3], s[sgprScalarGlobalReadOffsetA+14], offen offset:0 // G -> Reg 0_0_15_0
v_mfma_f32_16x16x16_bf16 a[104+0:107+0], v[vgprValuB_X1_I0+2+0+0:vgprValuB_X1_I0+2+0+0+1], v[vgprValuA_X1_I0+20+0+0:vgprValuA_X1_I0+20+0+0+1], a[104:107]
/*  mfmaIndex:86  */
v_mfma_f32_16x16x16_bf16 a[100+0:103+0], v[vgprValuB_X1_I0+2+0+0:vgprValuB_X1_I0+2+0+0+1], v[vgprValuA_X1_I0+18+0+0:vgprValuA_X1_I0+18+0+0+1], a[100:103]
/*  mfmaIndex:87  */
v_mfma_f32_16x16x16_bf16 a[96+0:99+0], v[vgprValuB_X1_I0+2+0+0:vgprValuB_X1_I0+2+0+0+1], v[vgprValuA_X1_I0+16+0+0:vgprValuA_X1_I0+16+0+0+1], a[96:99]
/*  mfmaIndex:88  */
/* sched write - iter 1 writesPerItem=1 */
s_waitcnt vmcnt(0)                                 // lgkmcnt=-1 vmcnt=0wait for global read before writing to local
_ds_store_b128 v[vgprLocalWriteAddrB], v[vgprG2LB+0:vgprG2LB+0+3] offset:0 // lwoB_0_0_0_0 = (0*LSCB)*(MT1J+PAD) + (0*LSPB) = 0
v_mfma_f32_16x16x16_bf16 a[92+0:95+0], v[vgprValuB_X1_I0+2+0+0:vgprValuB_X1_I0+2+0+0+1], v[vgprValuA_X1_I0+14+0+0:vgprValuA_X1_I0+14+0+0+1], a[92:95]
/*  mfmaIndex:89  */
_buffer_load_b128 v[vgprG2LB+0:vgprG2LB+0+3], v[vgprGlobalReadOffsetB+0], s[sgprSrdB:sgprSrdB+3], 0, offen offset:0 // G -> Reg 0_0_0_0
v_mfma_f32_16x16x16_bf16 a[88+0:91+0], v[vgprValuB_X1_I0+2+0+0:vgprValuB_X1_I0+2+0+0+1], v[vgprValuA_X1_I0+12+0+0:vgprValuA_X1_I0+12+0+0+1], a[88:91]
/*  mfmaIndex:90  */
v_mfma_f32_16x16x16_bf16 a[84+0:87+0], v[vgprValuB_X1_I0+2+0+0:vgprValuB_X1_I0+2+0+0+1], v[vgprValuA_X1_I0+10+0+0:vgprValuA_X1_I0+10+0+0+1], a[84:87]
/*  mfmaIndex:91  */
	;; [unrolled: 2-line block ×3, first 2 shown]
/* sched write - iter 1 writesPerItem=1 */
s_waitcnt vmcnt(0)                                 // lgkmcnt=-1 vmcnt=0wait for global read before writing to local
_ds_store_b128 v[vgprLocalWriteAddrB], v[vgprG2LB+4:vgprG2LB+4+3] offset:4608 // lwoB_0_0_1_0 = (0*LSCB)*(MT1J+PAD) + (1*LSPB) = 4608
v_mfma_f32_16x16x16_bf16 a[76+0:79+0], v[vgprValuB_X1_I0+2+0+0:vgprValuB_X1_I0+2+0+0+1], v[vgprValuA_X1_I0+6+0+0:vgprValuA_X1_I0+6+0+0+1], a[76:79]
/*  mfmaIndex:93  */
_buffer_load_b128 v[vgprG2LB+4:vgprG2LB+4+3], v[vgprGlobalReadOffsetB+0], s[sgprSrdB:sgprSrdB+3], s[sgprScalarGlobalReadOffsetB+0], offen offset:0 // G -> Reg 0_0_1_0
v_mfma_f32_16x16x16_bf16 a[72+0:75+0], v[vgprValuB_X1_I0+2+0+0:vgprValuB_X1_I0+2+0+0+1], v[vgprValuA_X1_I0+4+0+0:vgprValuA_X1_I0+4+0+0+1], a[72:75]
/*  mfmaIndex:94  */
v_mfma_f32_16x16x16_bf16 a[68+0:71+0], v[vgprValuB_X1_I0+2+0+0:vgprValuB_X1_I0+2+0+0+1], v[vgprValuA_X1_I0+2+0+0:vgprValuA_X1_I0+2+0+0+1], a[68:71]
/*  mfmaIndex:95  */
	;; [unrolled: 2-line block ×3, first 2 shown]
/* sched write - iter 1 writesPerItem=1 */
s_waitcnt vmcnt(0)                                 // lgkmcnt=-1 vmcnt=0wait for global read before writing to local
_ds_store_b128 v[vgprLocalWriteAddrB], v[vgprG2LB+8:vgprG2LB+8+3] offset:9216 // lwoB_0_0_2_0 = (0*LSCB)*(MT1J+PAD) + (2*LSPB) = 9216
v_mfma_f32_16x16x16_bf16 a[128+0:131+0], v[vgprValuB_X1_I0+4+0+0:vgprValuB_X1_I0+4+0+0+1], v[vgprValuA_X1_I0+0+0+0:vgprValuA_X1_I0+0+0+0+1], a[128:131]
/*  mfmaIndex:97  */
_buffer_load_b128 v[vgprG2LB+8:vgprG2LB+8+3], v[vgprGlobalReadOffsetB+0], s[sgprSrdB:sgprSrdB+3], s[sgprScalarGlobalReadOffsetB+1], offen offset:0 // G -> Reg 0_0_2_0
v_mfma_f32_16x16x16_bf16 a[132+0:135+0], v[vgprValuB_X1_I0+4+0+0:vgprValuB_X1_I0+4+0+0+1], v[vgprValuA_X1_I0+2+0+0:vgprValuA_X1_I0+2+0+0+1], a[132:135]
/*  mfmaIndex:98  */
v_mfma_f32_16x16x16_bf16 a[136+0:139+0], v[vgprValuB_X1_I0+4+0+0:vgprValuB_X1_I0+4+0+0+1], v[vgprValuA_X1_I0+4+0+0:vgprValuA_X1_I0+4+0+0+1], a[136:139]
/*  mfmaIndex:99  */
	;; [unrolled: 2-line block ×3, first 2 shown]
/* sched write - iter 1 writesPerItem=1 */
s_waitcnt vmcnt(0)                                 // lgkmcnt=-1 vmcnt=0wait for global read before writing to local
_ds_store_b128 v[vgprLocalWriteAddrB], v[vgprG2LB+12:vgprG2LB+12+3] offset:13824 // lwoB_0_0_3_0 = (0*LSCB)*(MT1J+PAD) + (3*LSPB) = 13824
v_mfma_f32_16x16x16_bf16 a[144+0:147+0], v[vgprValuB_X1_I0+4+0+0:vgprValuB_X1_I0+4+0+0+1], v[vgprValuA_X1_I0+8+0+0:vgprValuA_X1_I0+8+0+0+1], a[144:147]
/*  mfmaIndex:101  */
_buffer_load_b128 v[vgprG2LB+12:vgprG2LB+12+3], v[vgprGlobalReadOffsetB+0], s[sgprSrdB:sgprSrdB+3], s[sgprScalarGlobalReadOffsetB+2], offen offset:0 // G -> Reg 0_0_3_0

/* local write swap offsets a */

/* local write swap offsets b */
v_mfma_f32_16x16x16_bf16 a[148+0:151+0], v[vgprValuB_X1_I0+4+0+0:vgprValuB_X1_I0+4+0+0+1], v[vgprValuA_X1_I0+10+0+0:vgprValuA_X1_I0+10+0+0+1], a[148:151]
/*  mfmaIndex:102  */
v_mfma_f32_16x16x16_bf16 a[152+0:155+0], v[vgprValuB_X1_I0+4+0+0:vgprValuB_X1_I0+4+0+0+1], v[vgprValuA_X1_I0+12+0+0:vgprValuA_X1_I0+12+0+0+1], a[152:155]
s_setprio 0                                        // store optimization
/*  mfmaIndex:103  */
s_waitcnt lgkmcnt(0)                               // lgkmcnt=0 vmcnt=-13wait for local write
// Skip force waitcnt0
s_barrier //
v_mfma_f32_16x16x16_bf16 a[156+0:159+0], v[vgprValuB_X1_I0+4+0+0:vgprValuB_X1_I0+4+0+0+1], v[vgprValuA_X1_I0+14+0+0:vgprValuA_X1_I0+14+0+0+1], a[156:159]
/*  mfmaIndex:104  */
s_setprio 3                                        // store optimization
_ds_load_b64 v[vgprValuA_X0_I0+0:vgprValuA_X0_I0+0+1], v[vgprLocalReadAddrA] offset:0 // L -> Reg lro=0 swapByteOffset=0 ti=64 vIdx=0 rIdx=0 oIdx=0 buffer=0 iui=0
v_mfma_f32_16x16x16_bf16 a[160+0:163+0], v[vgprValuB_X1_I0+4+0+0:vgprValuB_X1_I0+4+0+0+1], v[vgprValuA_X1_I0+16+0+0:vgprValuA_X1_I0+16+0+0+1], a[160:163]
/*  mfmaIndex:105  */
_ds_load_b64 v[vgprValuB_X0_I0+0:vgprValuB_X0_I0+0+1], v[vgprLocalReadAddrB] offset:0 // L -> Reg lro=0 swapByteOffset=0 ti=64 vIdx=0 rIdx=0 oIdx=0 buffer=0 iui=0
v_mfma_f32_16x16x16_bf16 a[164+0:167+0], v[vgprValuB_X1_I0+4+0+0:vgprValuB_X1_I0+4+0+0+1], v[vgprValuA_X1_I0+18+0+0:vgprValuA_X1_I0+18+0+0+1], a[164:167]
/*  mfmaIndex:106  */
_ds_load_b64 v[vgprValuA_X0_I0+2:vgprValuA_X0_I0+2+1], v[vgprLocalReadAddrA] offset:64 // L -> Reg lro=0 swapByteOffset=0 ti=64 vIdx=0 rIdx=0 oIdx=0 buffer=0 iui=0
v_mfma_f32_16x16x16_bf16 a[168+0:171+0], v[vgprValuB_X1_I0+4+0+0:vgprValuB_X1_I0+4+0+0+1], v[vgprValuA_X1_I0+20+0+0:vgprValuA_X1_I0+20+0+0+1], a[168:171]
/*  mfmaIndex:107  */
_ds_load_b64 v[vgprValuA_X0_I0+4:vgprValuA_X0_I0+4+1], v[vgprLocalReadAddrA] offset:128 // L -> Reg lro=0 swapByteOffset=0 ti=64 vIdx=0 rIdx=0 oIdx=0 buffer=0 iui=0
	;; [unrolled: 3-line block ×15, first 2 shown]
v_mfma_f32_16x16x16_bf16 a[220+0:223+0], v[vgprValuB_X1_I0+6+0+0:vgprValuB_X1_I0+6+0+0+1], v[vgprValuA_X1_I0+14+0+0:vgprValuA_X1_I0+14+0+0+1], a[220:223]
/*  mfmaIndex:121  */
_ds_load_b64 v[vgprValuB_X0_I0+2:vgprValuB_X0_I0+2+1], v[vgprLocalReadAddrB] offset:4608 // L -> Reg lro=0 swapByteOffset=0 ti=64 vIdx=1 rIdx=0 oIdx=0 buffer=0 iui=0
v_mfma_f32_16x16x16_bf16 a[216+0:219+0], v[vgprValuB_X1_I0+6+0+0:vgprValuB_X1_I0+6+0+0+1], v[vgprValuA_X1_I0+12+0+0:vgprValuA_X1_I0+12+0+0+1], a[216:219]
/*  mfmaIndex:122  */
_ds_load_b64 v[vgprValuB_X0_I0+4:vgprValuB_X0_I0+4+1], v[vgprLocalReadAddrB] offset:9216 // L -> Reg lro=0 swapByteOffset=0 ti=64 vIdx=2 rIdx=0 oIdx=0 buffer=0 iui=0
	;; [unrolled: 3-line block ×3, first 2 shown]
v_mfma_f32_16x16x16_bf16 a[208+0:211+0], v[vgprValuB_X1_I0+6+0+0:vgprValuB_X1_I0+6+0+0+1], v[vgprValuA_X1_I0+8+0+0:vgprValuA_X1_I0+8+0+0+1], a[208:211]
/*  mfmaIndex:124  */
v_mfma_f32_16x16x16_bf16 a[204+0:207+0], v[vgprValuB_X1_I0+6+0+0:vgprValuB_X1_I0+6+0+0+1], v[vgprValuA_X1_I0+6+0+0:vgprValuA_X1_I0+6+0+0+1], a[204:207]
/*  mfmaIndex:125  */
	;; [unrolled: 2-line block ×4, first 2 shown]
v_mfma_f32_16x16x16_bf16 a[192+0:195+0], v[vgprValuB_X1_I0+6+0+0:vgprValuB_X1_I0+6+0+0+1], v[vgprValuA_X1_I0+0+0+0:vgprValuA_X1_I0+0+0+0+1], a[192:195]
s_setprio 0                                        // store optimization


/******************************************/
/* Unrolled Loop - End 1/2                */
/******************************************/


/* closeLoop loopL finalLoop=0 tailLoop=0 */
s_sub_u32 s[sgprLoopCounterL], s[sgprLoopCounterL], 1 // dec counterL
s_cmp_eq_i32 s[sgprLoopCounterL], 0x2              // counterL==2
s_cbranch_scc1 LoopEndL_oddexit_3                  // exit LoopL


/******************************************/
/* Unrolled Loop 2/2 - Begin              */
/******************************************/

label_0016: // LoopCopy2 


/* Begin Each Unroll: Check VGPR.checkin for INT8 LW */


	;; [unrolled: 1-line block ×3, first 2 shown]
/* iter 0 (reset local read pointers iteration)  (swap local read pointers iteration)  */

/*  grEndMfmaIndex:18, lwStartMfmaIndex:26, lwEndMfmaIndex:101  */
/*  numMfmaForLR:24, barrierMfmaIndex:103, LocalWritePerMfma:0.255 */
/*  mfmaIndex:0  */
s_waitcnt lgkmcnt(0)                               // lgkmcnt=0 vmcnt=-1wait for prior local read local write old=0, new=0 newLW=0 newLR=0
v_mfma_f32_16x16x16_bf16 a[0+0:3+0], v[vgprValuB_X0_I0+0+0+0:vgprValuB_X0_I0+0+0+0+1], v[vgprValuA_X0_I0+0+0+0:vgprValuA_X0_I0+0+0+0+1], a[0:3]
/*  mfmaIndex:1  */
_ds_load_b64 v[vgprValuA_X1_I0+0:vgprValuA_X1_I0+0+1], v[vgprLocalReadAddrA] offset:32 // L -> Reg lro=16 swapByteOffset=0 ti=64 vIdx=0 rIdx=0 oIdx=0 buffer=1 iui=0

/* global read inc A loopL */
s_cmp_eq_u32 s[sgprLoopCounterL], s[sgprStaggerUIter] // Is this the wrapIter?
v_mfma_f32_16x16x16_bf16 a[4+0:7+0], v[vgprValuB_X0_I0+0+0+0:vgprValuB_X0_I0+0+0+0+1], v[vgprValuA_X0_I0+2+0+0:vgprValuA_X0_I0+2+0+0+1], a[4:7]
/*  mfmaIndex:2  */
_ds_load_b64 v[vgprValuB_X1_I0+0:vgprValuB_X1_I0+0+1], v[vgprLocalReadAddrB] offset:32 // L -> Reg lro=16 swapByteOffset=0 ti=64 vIdx=0 rIdx=0 oIdx=0 buffer=1 iui=0
s_cselect_b32 s76, s[sgprWrapUA+0], s[sgprGlobalReadIncsA+0] // incLower <- ?
v_mfma_f32_16x16x16_bf16 a[8+0:11+0], v[vgprValuB_X0_I0+0+0+0:vgprValuB_X0_I0+0+0+0+1], v[vgprValuA_X0_I0+4+0+0:vgprValuA_X0_I0+4+0+0+1], a[8:11]
/*  mfmaIndex:3  */
_ds_load_b64 v[vgprValuA_X1_I0+2:vgprValuA_X1_I0+2+1], v[vgprLocalReadAddrA] offset:96 // L -> Reg lro=16 swapByteOffset=0 ti=64 vIdx=0 rIdx=0 oIdx=0 buffer=1 iui=0
s_cselect_b32 s77, s[sgprWrapUA+1], 0              // incUpper <- ?
v_mfma_f32_16x16x16_bf16 a[12+0:15+0], v[vgprValuB_X0_I0+0+0+0:vgprValuB_X0_I0+0+0+0+1], v[vgprValuA_X0_I0+6+0+0:vgprValuA_X0_I0+6+0+0+1], a[12:15]
/*  mfmaIndex:4  */
_ds_load_b64 v[vgprValuA_X1_I0+4:vgprValuA_X1_I0+4+1], v[vgprLocalReadAddrA] offset:160 // L -> Reg lro=16 swapByteOffset=0 ti=64 vIdx=0 rIdx=0 oIdx=0 buffer=1 iui=0
s_add_u32 s[sgprSrdA+0], s[sgprSrdA+0], s76        // gra SRD += inc(lower)
v_mfma_f32_16x16x16_bf16 a[16+0:19+0], v[vgprValuB_X0_I0+0+0+0:vgprValuB_X0_I0+0+0+0+1], v[vgprValuA_X0_I0+8+0+0:vgprValuA_X0_I0+8+0+0+1], a[16:19]
/*  mfmaIndex:5  */
_ds_load_b64 v[vgprValuA_X1_I0+6:vgprValuA_X1_I0+6+1], v[vgprLocalReadAddrA] offset:224 // L -> Reg lro=16 swapByteOffset=0 ti=64 vIdx=0 rIdx=0 oIdx=0 buffer=1 iui=0
s_addc_u32  s[sgprSrdA+1], s[sgprSrdA+1], s77      // gra SRD += inc(upper)
v_mfma_f32_16x16x16_bf16 a[20+0:23+0], v[vgprValuB_X0_I0+0+0+0:vgprValuB_X0_I0+0+0+0+1], v[vgprValuA_X0_I0+10+0+0:vgprValuA_X0_I0+10+0+0+1], a[20:23]
/*  mfmaIndex:6  */
_ds_load_b64 v[vgprValuA_X1_I0+8:vgprValuA_X1_I0+8+1], v[vgprLocalReadAddrA] offset:4256 // L -> Reg lro=16 swapByteOffset=0 ti=64 vIdx=1 rIdx=0 oIdx=0 buffer=1 iui=0
s_sub_u32 s[sgprShadowLimitA+0], s[sgprShadowLimitA+0], s76 // limit -= inc)
v_mfma_f32_16x16x16_bf16 a[24+0:27+0], v[vgprValuB_X0_I0+0+0+0:vgprValuB_X0_I0+0+0+0+1], v[vgprValuA_X0_I0+12+0+0:vgprValuA_X0_I0+12+0+0+1], a[24:27]
/*  mfmaIndex:7  */
_ds_load_b64 v[vgprValuA_X1_I0+10:vgprValuA_X1_I0+10+1], v[vgprLocalReadAddrA] offset:4320 // L -> Reg lro=16 swapByteOffset=0 ti=64 vIdx=1 rIdx=0 oIdx=0 buffer=1 iui=0
s_subb_u32 s[sgprShadowLimitA+1], s[sgprShadowLimitA+1], s77 // limit -= inc)
v_mfma_f32_16x16x16_bf16 a[28+0:31+0], v[vgprValuB_X0_I0+0+0+0:vgprValuB_X0_I0+0+0+0+1], v[vgprValuA_X0_I0+14+0+0:vgprValuA_X0_I0+14+0+0+1], a[28:31]
/*  mfmaIndex:8  */
_ds_load_b64 v[vgprValuA_X1_I0+12:vgprValuA_X1_I0+12+1], v[vgprLocalReadAddrA] offset:4384 // L -> Reg lro=16 swapByteOffset=0 ti=64 vIdx=1 rIdx=0 oIdx=0 buffer=1 iui=0
s_cmp_eq_u32 s[sgprShadowLimitA+1], 0              // are we within 2^32?
v_mfma_f32_16x16x16_bf16 a[32+0:35+0], v[vgprValuB_X0_I0+0+0+0:vgprValuB_X0_I0+0+0+0+1], v[vgprValuA_X0_I0+16+0+0:vgprValuA_X0_I0+16+0+0+1], a[32:35]
/*  mfmaIndex:9  */
_ds_load_b64 v[vgprValuA_X1_I0+14:vgprValuA_X1_I0+14+1], v[vgprLocalReadAddrA] offset:4448 // L -> Reg lro=16 swapByteOffset=0 ti=64 vIdx=1 rIdx=0 oIdx=0 buffer=1 iui=0
s_cselect_b32 s[sgprSrdA+2], s[sgprShadowLimitA+0], BufferLimitA // Move shadow to real if we are within 2^32
v_mfma_f32_16x16x16_bf16 a[36+0:39+0], v[vgprValuB_X0_I0+0+0+0:vgprValuB_X0_I0+0+0+0+1], v[vgprValuA_X0_I0+18+0+0:vgprValuA_X0_I0+18+0+0+1], a[36:39]
/*  mfmaIndex:10  */
_ds_load_b64 v[vgprValuA_X1_I0+16:vgprValuA_X1_I0+16+1], v[vgprLocalReadAddrA] offset:8480 // L -> Reg lro=16 swapByteOffset=0 ti=64 vIdx=2 rIdx=0 oIdx=0 buffer=1 iui=0

/* global read inc B loopL */
s_cmp_eq_u32 s[sgprLoopCounterL], s[sgprStaggerUIter] // Is this the wrapIter?
v_mfma_f32_16x16x16_bf16 a[40+0:43+0], v[vgprValuB_X0_I0+0+0+0:vgprValuB_X0_I0+0+0+0+1], v[vgprValuA_X0_I0+20+0+0:vgprValuA_X0_I0+20+0+0+1], a[40:43]
/*  mfmaIndex:11  */
_ds_load_b64 v[vgprValuA_X1_I0+18:vgprValuA_X1_I0+18+1], v[vgprLocalReadAddrA] offset:8544 // L -> Reg lro=16 swapByteOffset=0 ti=64 vIdx=2 rIdx=0 oIdx=0 buffer=1 iui=0
s_cselect_b32 s76, s[sgprWrapUB+0], s[sgprGlobalReadIncsB+0] // incLower <- ?
v_mfma_f32_16x16x16_bf16 a[44+0:47+0], v[vgprValuB_X0_I0+0+0+0:vgprValuB_X0_I0+0+0+0+1], v[vgprValuA_X0_I0+22+0+0:vgprValuA_X0_I0+22+0+0+1], a[44:47]
/*  mfmaIndex:12  */
_ds_load_b64 v[vgprValuA_X1_I0+20:vgprValuA_X1_I0+20+1], v[vgprLocalReadAddrA] offset:8608 // L -> Reg lro=16 swapByteOffset=0 ti=64 vIdx=2 rIdx=0 oIdx=0 buffer=1 iui=0
s_cselect_b32 s77, s[sgprWrapUB+1], 0              // incUpper <- ?
v_mfma_f32_16x16x16_bf16 a[48+0:51+0], v[vgprValuB_X0_I0+0+0+0:vgprValuB_X0_I0+0+0+0+1], v[vgprValuA_X0_I0+24+0+0:vgprValuA_X0_I0+24+0+0+1], a[48:51]
/*  mfmaIndex:13  */
_ds_load_b64 v[vgprValuA_X1_I0+22:vgprValuA_X1_I0+22+1], v[vgprLocalReadAddrA] offset:8672 // L -> Reg lro=16 swapByteOffset=0 ti=64 vIdx=2 rIdx=0 oIdx=0 buffer=1 iui=0
s_add_u32 s[sgprSrdB+0], s[sgprSrdB+0], s76        // gra SRD += inc(lower)
v_mfma_f32_16x16x16_bf16 a[52+0:55+0], v[vgprValuB_X0_I0+0+0+0:vgprValuB_X0_I0+0+0+0+1], v[vgprValuA_X0_I0+26+0+0:vgprValuA_X0_I0+26+0+0+1], a[52:55]
/*  mfmaIndex:14  */
_ds_load_b64 v[vgprValuA_X1_I0+24:vgprValuA_X1_I0+24+1], v[vgprLocalReadAddrA] offset:12704 // L -> Reg lro=16 swapByteOffset=0 ti=64 vIdx=3 rIdx=0 oIdx=0 buffer=1 iui=0
s_addc_u32  s[sgprSrdB+1], s[sgprSrdB+1], s77      // gra SRD += inc(upper)
v_mfma_f32_16x16x16_bf16 a[56+0:59+0], v[vgprValuB_X0_I0+0+0+0:vgprValuB_X0_I0+0+0+0+1], v[vgprValuA_X0_I0+28+0+0:vgprValuA_X0_I0+28+0+0+1], a[56:59]
/*  mfmaIndex:15  */
_ds_load_b64 v[vgprValuA_X1_I0+26:vgprValuA_X1_I0+26+1], v[vgprLocalReadAddrA] offset:12768 // L -> Reg lro=16 swapByteOffset=0 ti=64 vIdx=3 rIdx=0 oIdx=0 buffer=1 iui=0
s_sub_u32 s[sgprShadowLimitB+0], s[sgprShadowLimitB+0], s76 // limit -= inc)
v_mfma_f32_16x16x16_bf16 a[60+0:63+0], v[vgprValuB_X0_I0+0+0+0:vgprValuB_X0_I0+0+0+0+1], v[vgprValuA_X0_I0+30+0+0:vgprValuA_X0_I0+30+0+0+1], a[60:63]
/*  mfmaIndex:16  */
_ds_load_b64 v[vgprValuA_X1_I0+28:vgprValuA_X1_I0+28+1], v[vgprLocalReadAddrA] offset:12832 // L -> Reg lro=16 swapByteOffset=0 ti=64 vIdx=3 rIdx=0 oIdx=0 buffer=1 iui=0
s_subb_u32 s[sgprShadowLimitB+1], s[sgprShadowLimitB+1], s77 // limit -= inc)
v_mfma_f32_16x16x16_bf16 a[124+0:127+0], v[vgprValuB_X0_I0+2+0+0:vgprValuB_X0_I0+2+0+0+1], v[vgprValuA_X0_I0+30+0+0:vgprValuA_X0_I0+30+0+0+1], a[124:127]
/*  mfmaIndex:17  */
_ds_load_b64 v[vgprValuA_X1_I0+30:vgprValuA_X1_I0+30+1], v[vgprLocalReadAddrA] offset:12896 // L -> Reg lro=16 swapByteOffset=0 ti=64 vIdx=3 rIdx=0 oIdx=0 buffer=1 iui=0
s_cmp_eq_u32 s[sgprShadowLimitB+1], 0              // are we within 2^32?
v_mfma_f32_16x16x16_bf16 a[120+0:123+0], v[vgprValuB_X0_I0+2+0+0:vgprValuB_X0_I0+2+0+0+1], v[vgprValuA_X0_I0+28+0+0:vgprValuA_X0_I0+28+0+0+1], a[120:123]
/*  mfmaIndex:18  */
_ds_load_b64 v[vgprValuB_X1_I0+2:vgprValuB_X1_I0+2+1], v[vgprLocalReadAddrB] offset:4640 // L -> Reg lro=16 swapByteOffset=0 ti=64 vIdx=1 rIdx=0 oIdx=0 buffer=1 iui=0
s_cselect_b32 s[sgprSrdB+2], s[sgprShadowLimitB+0], BufferLimitB // Move shadow to real if we are within 2^32
v_mfma_f32_16x16x16_bf16 a[116+0:119+0], v[vgprValuB_X0_I0+2+0+0:vgprValuB_X0_I0+2+0+0+1], v[vgprValuA_X0_I0+26+0+0:vgprValuA_X0_I0+26+0+0+1], a[116:119]
/*  mfmaIndex:19  */
_ds_load_b64 v[vgprValuB_X1_I0+4:vgprValuB_X1_I0+4+1], v[vgprLocalReadAddrB] offset:9248 // L -> Reg lro=16 swapByteOffset=0 ti=64 vIdx=2 rIdx=0 oIdx=0 buffer=1 iui=0
v_mfma_f32_16x16x16_bf16 a[112+0:115+0], v[vgprValuB_X0_I0+2+0+0:vgprValuB_X0_I0+2+0+0+1], v[vgprValuA_X0_I0+24+0+0:vgprValuA_X0_I0+24+0+0+1], a[112:115]
/*  mfmaIndex:20  */
_ds_load_b64 v[vgprValuB_X1_I0+6:vgprValuB_X1_I0+6+1], v[vgprLocalReadAddrB] offset:13856 // L -> Reg lro=16 swapByteOffset=0 ti=64 vIdx=3 rIdx=0 oIdx=0 buffer=1 iui=0
v_mfma_f32_16x16x16_bf16 a[108+0:111+0], v[vgprValuB_X0_I0+2+0+0:vgprValuB_X0_I0+2+0+0+1], v[vgprValuA_X0_I0+22+0+0:vgprValuA_X0_I0+22+0+0+1], a[108:111]
/*  mfmaIndex:21  */
/* localReadsVacancy: latencyLeft 2 */
v_mfma_f32_16x16x16_bf16 a[104+0:107+0], v[vgprValuB_X0_I0+2+0+0:vgprValuB_X0_I0+2+0+0+1], v[vgprValuA_X0_I0+20+0+0:vgprValuA_X0_I0+20+0+0+1], a[104:107]
/*  mfmaIndex:22  */
/* localReadsVacancy: latencyLeft 2 */
	;; [unrolled: 3-line block ×5, first 2 shown]
/* 1 LDS buffer: read-sync-write */
s_waitcnt lgkmcnt(0)                               // 
s_barrier                                          // 
v_mfma_f32_16x16x16_bf16 a[88+0:91+0], v[vgprValuB_X0_I0+2+0+0:vgprValuB_X0_I0+2+0+0+1], v[vgprValuA_X0_I0+12+0+0:vgprValuA_X0_I0+12+0+0+1], a[88:91]
/*  mfmaIndex:26  */
s_setprio 3                                        // store optimization
/* sched write - iter 0 writesPerItem=1 */
s_waitcnt vmcnt(0)                                 // lgkmcnt=-1 vmcnt=0wait for global read before writing to local
_ds_store_b32 v[vgprLocalWriteAddrA], v[vgprG2LA+0] offset:0 // lwoA_0_0_0_0 = (0*LSCA)*(MT0I+PAD) + (0*LSPA) = 0
v_mfma_f32_16x16x16_bf16 a[84+0:87+0], v[vgprValuB_X0_I0+2+0+0:vgprValuB_X0_I0+2+0+0+1], v[vgprValuA_X0_I0+10+0+0:vgprValuA_X0_I0+10+0+0+1], a[84:87]
/*  mfmaIndex:27  */
_buffer_load_b32 v[vgprG2LA+0], v[vgprGlobalReadOffsetA+0], s[sgprSrdA:sgprSrdA+3], 0, offen offset:0 // G -> Reg 0_0_0_0
v_mfma_f32_16x16x16_bf16 a[80+0:83+0], v[vgprValuB_X0_I0+2+0+0:vgprValuB_X0_I0+2+0+0+1], v[vgprValuA_X0_I0+8+0+0:vgprValuA_X0_I0+8+0+0+1], a[80:83]
/*  mfmaIndex:28  */
v_mfma_f32_16x16x16_bf16 a[76+0:79+0], v[vgprValuB_X0_I0+2+0+0:vgprValuB_X0_I0+2+0+0+1], v[vgprValuA_X0_I0+6+0+0:vgprValuA_X0_I0+6+0+0+1], a[76:79]
/*  mfmaIndex:29  */
/* sched write - iter 0 writesPerItem=1 */
s_waitcnt vmcnt(0)                                 // lgkmcnt=-1 vmcnt=0wait for global read before writing to local
_ds_store_b32 v[vgprLocalWriteAddrA], v[vgprG2LA+1] offset:1056 // lwoA_0_0_1_0 = (0*LSCA)*(MT0I+PAD) + (1*LSPA) = 1056
v_mfma_f32_16x16x16_bf16 a[72+0:75+0], v[vgprValuB_X0_I0+2+0+0:vgprValuB_X0_I0+2+0+0+1], v[vgprValuA_X0_I0+4+0+0:vgprValuA_X0_I0+4+0+0+1], a[72:75]
/*  mfmaIndex:30  */
_buffer_load_b32 v[vgprG2LA+1], v[vgprGlobalReadOffsetA+0], s[sgprSrdA:sgprSrdA+3], s[sgprScalarGlobalReadOffsetA+0], offen offset:0 // G -> Reg 0_0_1_0
v_mfma_f32_16x16x16_bf16 a[68+0:71+0], v[vgprValuB_X0_I0+2+0+0:vgprValuB_X0_I0+2+0+0+1], v[vgprValuA_X0_I0+2+0+0:vgprValuA_X0_I0+2+0+0+1], a[68:71]
/*  mfmaIndex:31  */
v_mfma_f32_16x16x16_bf16 a[64+0:67+0], v[vgprValuB_X0_I0+2+0+0:vgprValuB_X0_I0+2+0+0+1], v[vgprValuA_X0_I0+0+0+0:vgprValuA_X0_I0+0+0+0+1], a[64:67]
/*  mfmaIndex:32  */
	;; [unrolled: 2-line block ×3, first 2 shown]
/* sched write - iter 0 writesPerItem=1 */
s_waitcnt vmcnt(0)                                 // lgkmcnt=-1 vmcnt=0wait for global read before writing to local
_ds_store_b32 v[vgprLocalWriteAddrA], v[vgprG2LA+2] offset:2112 // lwoA_0_0_2_0 = (0*LSCA)*(MT0I+PAD) + (2*LSPA) = 2112
v_mfma_f32_16x16x16_bf16 a[132+0:135+0], v[vgprValuB_X0_I0+4+0+0:vgprValuB_X0_I0+4+0+0+1], v[vgprValuA_X0_I0+2+0+0:vgprValuA_X0_I0+2+0+0+1], a[132:135]
/*  mfmaIndex:34  */
_buffer_load_b32 v[vgprG2LA+2], v[vgprGlobalReadOffsetA+0], s[sgprSrdA:sgprSrdA+3], s[sgprScalarGlobalReadOffsetA+1], offen offset:0 // G -> Reg 0_0_2_0
v_mfma_f32_16x16x16_bf16 a[136+0:139+0], v[vgprValuB_X0_I0+4+0+0:vgprValuB_X0_I0+4+0+0+1], v[vgprValuA_X0_I0+4+0+0:vgprValuA_X0_I0+4+0+0+1], a[136:139]
/*  mfmaIndex:35  */
v_mfma_f32_16x16x16_bf16 a[140+0:143+0], v[vgprValuB_X0_I0+4+0+0:vgprValuB_X0_I0+4+0+0+1], v[vgprValuA_X0_I0+6+0+0:vgprValuA_X0_I0+6+0+0+1], a[140:143]
/*  mfmaIndex:36  */
	;; [unrolled: 2-line block ×3, first 2 shown]
/* sched write - iter 0 writesPerItem=1 */
s_waitcnt vmcnt(0)                                 // lgkmcnt=-1 vmcnt=0wait for global read before writing to local
_ds_store_b32 v[vgprLocalWriteAddrA], v[vgprG2LA+3] offset:3168 // lwoA_0_0_3_0 = (0*LSCA)*(MT0I+PAD) + (3*LSPA) = 3168
v_mfma_f32_16x16x16_bf16 a[148+0:151+0], v[vgprValuB_X0_I0+4+0+0:vgprValuB_X0_I0+4+0+0+1], v[vgprValuA_X0_I0+10+0+0:vgprValuA_X0_I0+10+0+0+1], a[148:151]
/*  mfmaIndex:38  */
_buffer_load_b32 v[vgprG2LA+3], v[vgprGlobalReadOffsetA+0], s[sgprSrdA:sgprSrdA+3], s[sgprScalarGlobalReadOffsetA+2], offen offset:0 // G -> Reg 0_0_3_0
v_mfma_f32_16x16x16_bf16 a[152+0:155+0], v[vgprValuB_X0_I0+4+0+0:vgprValuB_X0_I0+4+0+0+1], v[vgprValuA_X0_I0+12+0+0:vgprValuA_X0_I0+12+0+0+1], a[152:155]
/*  mfmaIndex:39  */
v_mfma_f32_16x16x16_bf16 a[156+0:159+0], v[vgprValuB_X0_I0+4+0+0:vgprValuB_X0_I0+4+0+0+1], v[vgprValuA_X0_I0+14+0+0:vgprValuA_X0_I0+14+0+0+1], a[156:159]
/*  mfmaIndex:40  */
v_mfma_f32_16x16x16_bf16 a[160+0:163+0], v[vgprValuB_X0_I0+4+0+0:vgprValuB_X0_I0+4+0+0+1], v[vgprValuA_X0_I0+16+0+0:vgprValuA_X0_I0+16+0+0+1], a[160:163]
/*  mfmaIndex:41  */
/* sched write - iter 0 writesPerItem=1 */
s_waitcnt vmcnt(0)                                 // lgkmcnt=-1 vmcnt=0wait for global read before writing to local
_ds_store_b32 v[vgprLocalWriteAddrA], v[vgprG2LA+4] offset:4224 // lwoA_0_0_4_0 = (0*LSCA)*(MT0I+PAD) + (4*LSPA) = 4224
v_mfma_f32_16x16x16_bf16 a[164+0:167+0], v[vgprValuB_X0_I0+4+0+0:vgprValuB_X0_I0+4+0+0+1], v[vgprValuA_X0_I0+18+0+0:vgprValuA_X0_I0+18+0+0+1], a[164:167]
/*  mfmaIndex:42  */
_buffer_load_b32 v[vgprG2LA+4], v[vgprGlobalReadOffsetA+0], s[sgprSrdA:sgprSrdA+3], s[sgprScalarGlobalReadOffsetA+3], offen offset:0 // G -> Reg 0_0_4_0
v_mfma_f32_16x16x16_bf16 a[168+0:171+0], v[vgprValuB_X0_I0+4+0+0:vgprValuB_X0_I0+4+0+0+1], v[vgprValuA_X0_I0+20+0+0:vgprValuA_X0_I0+20+0+0+1], a[168:171]
/*  mfmaIndex:43  */
v_mfma_f32_16x16x16_bf16 a[172+0:175+0], v[vgprValuB_X0_I0+4+0+0:vgprValuB_X0_I0+4+0+0+1], v[vgprValuA_X0_I0+22+0+0:vgprValuA_X0_I0+22+0+0+1], a[172:175]
/*  mfmaIndex:44  */
v_mfma_f32_16x16x16_bf16 a[176+0:179+0], v[vgprValuB_X0_I0+4+0+0:vgprValuB_X0_I0+4+0+0+1], v[vgprValuA_X0_I0+24+0+0:vgprValuA_X0_I0+24+0+0+1], a[176:179]
/*  mfmaIndex:45  */
/* sched write - iter 0 writesPerItem=1 */
s_waitcnt vmcnt(0)                                 // lgkmcnt=-1 vmcnt=0wait for global read before writing to local
_ds_store_b32 v[vgprLocalWriteAddrA], v[vgprG2LA+5] offset:5280 // lwoA_0_0_5_0 = (0*LSCA)*(MT0I+PAD) + (5*LSPA) = 5280
v_mfma_f32_16x16x16_bf16 a[180+0:183+0], v[vgprValuB_X0_I0+4+0+0:vgprValuB_X0_I0+4+0+0+1], v[vgprValuA_X0_I0+26+0+0:vgprValuA_X0_I0+26+0+0+1], a[180:183]
/*  mfmaIndex:46  */
_buffer_load_b32 v[vgprG2LA+5], v[vgprGlobalReadOffsetA+0], s[sgprSrdA:sgprSrdA+3], s[sgprScalarGlobalReadOffsetA+4], offen offset:0 // G -> Reg 0_0_5_0
v_mfma_f32_16x16x16_bf16 a[184+0:187+0], v[vgprValuB_X0_I0+4+0+0:vgprValuB_X0_I0+4+0+0+1], v[vgprValuA_X0_I0+28+0+0:vgprValuA_X0_I0+28+0+0+1], a[184:187]
/*  mfmaIndex:47  */
v_mfma_f32_16x16x16_bf16 a[188+0:191+0], v[vgprValuB_X0_I0+4+0+0:vgprValuB_X0_I0+4+0+0+1], v[vgprValuA_X0_I0+30+0+0:vgprValuA_X0_I0+30+0+0+1], a[188:191]
/*  mfmaIndex:48  */
	;; [unrolled: 2-line block ×3, first 2 shown]
/* sched write - iter 0 writesPerItem=1 */
s_waitcnt vmcnt(0)                                 // lgkmcnt=-1 vmcnt=0wait for global read before writing to local
_ds_store_b32 v[vgprLocalWriteAddrA], v[vgprG2LA+6] offset:6336 // lwoA_0_0_6_0 = (0*LSCA)*(MT0I+PAD) + (6*LSPA) = 6336
v_mfma_f32_16x16x16_bf16 a[248+0:251+0], v[vgprValuB_X0_I0+6+0+0:vgprValuB_X0_I0+6+0+0+1], v[vgprValuA_X0_I0+28+0+0:vgprValuA_X0_I0+28+0+0+1], a[248:251]
/*  mfmaIndex:50  */
_buffer_load_b32 v[vgprG2LA+6], v[vgprGlobalReadOffsetA+0], s[sgprSrdA:sgprSrdA+3], s[sgprScalarGlobalReadOffsetA+5], offen offset:0 // G -> Reg 0_0_6_0
v_mfma_f32_16x16x16_bf16 a[244+0:247+0], v[vgprValuB_X0_I0+6+0+0:vgprValuB_X0_I0+6+0+0+1], v[vgprValuA_X0_I0+26+0+0:vgprValuA_X0_I0+26+0+0+1], a[244:247]
/*  mfmaIndex:51  */
v_mfma_f32_16x16x16_bf16 a[240+0:243+0], v[vgprValuB_X0_I0+6+0+0:vgprValuB_X0_I0+6+0+0+1], v[vgprValuA_X0_I0+24+0+0:vgprValuA_X0_I0+24+0+0+1], a[240:243]
/*  mfmaIndex:52  */
	;; [unrolled: 2-line block ×3, first 2 shown]
/* sched write - iter 0 writesPerItem=1 */
s_waitcnt vmcnt(0)                                 // lgkmcnt=-1 vmcnt=0wait for global read before writing to local
_ds_store_b32 v[vgprLocalWriteAddrA], v[vgprG2LA+7] offset:7392 // lwoA_0_0_7_0 = (0*LSCA)*(MT0I+PAD) + (7*LSPA) = 7392
v_mfma_f32_16x16x16_bf16 a[232+0:235+0], v[vgprValuB_X0_I0+6+0+0:vgprValuB_X0_I0+6+0+0+1], v[vgprValuA_X0_I0+20+0+0:vgprValuA_X0_I0+20+0+0+1], a[232:235]
/*  mfmaIndex:54  */
_buffer_load_b32 v[vgprG2LA+7], v[vgprGlobalReadOffsetA+0], s[sgprSrdA:sgprSrdA+3], s[sgprScalarGlobalReadOffsetA+6], offen offset:0 // G -> Reg 0_0_7_0
v_mfma_f32_16x16x16_bf16 a[228+0:231+0], v[vgprValuB_X0_I0+6+0+0:vgprValuB_X0_I0+6+0+0+1], v[vgprValuA_X0_I0+18+0+0:vgprValuA_X0_I0+18+0+0+1], a[228:231]
/*  mfmaIndex:55  */
v_mfma_f32_16x16x16_bf16 a[224+0:227+0], v[vgprValuB_X0_I0+6+0+0:vgprValuB_X0_I0+6+0+0+1], v[vgprValuA_X0_I0+16+0+0:vgprValuA_X0_I0+16+0+0+1], a[224:227]
/*  mfmaIndex:56  */
	;; [unrolled: 2-line block ×3, first 2 shown]
/* sched write - iter 0 writesPerItem=1 */
s_waitcnt vmcnt(0)                                 // lgkmcnt=-1 vmcnt=0wait for global read before writing to local
_ds_store_b32 v[vgprLocalWriteAddrA], v[vgprG2LA+8] offset:8448 // lwoA_0_0_8_0 = (0*LSCA)*(MT0I+PAD) + (8*LSPA) = 8448
v_mfma_f32_16x16x16_bf16 a[216+0:219+0], v[vgprValuB_X0_I0+6+0+0:vgprValuB_X0_I0+6+0+0+1], v[vgprValuA_X0_I0+12+0+0:vgprValuA_X0_I0+12+0+0+1], a[216:219]
/*  mfmaIndex:58  */
_buffer_load_b32 v[vgprG2LA+8], v[vgprGlobalReadOffsetA+0], s[sgprSrdA:sgprSrdA+3], s[sgprScalarGlobalReadOffsetA+7], offen offset:0 // G -> Reg 0_0_8_0
v_mfma_f32_16x16x16_bf16 a[212+0:215+0], v[vgprValuB_X0_I0+6+0+0:vgprValuB_X0_I0+6+0+0+1], v[vgprValuA_X0_I0+10+0+0:vgprValuA_X0_I0+10+0+0+1], a[212:215]
/*  mfmaIndex:59  */
v_mfma_f32_16x16x16_bf16 a[208+0:211+0], v[vgprValuB_X0_I0+6+0+0:vgprValuB_X0_I0+6+0+0+1], v[vgprValuA_X0_I0+8+0+0:vgprValuA_X0_I0+8+0+0+1], a[208:211]
/*  mfmaIndex:60  */
	;; [unrolled: 2-line block ×3, first 2 shown]
/* sched write - iter 0 writesPerItem=1 */
s_waitcnt vmcnt(0)                                 // lgkmcnt=-1 vmcnt=0wait for global read before writing to local
_ds_store_b32 v[vgprLocalWriteAddrA], v[vgprG2LA+9] offset:9504 // lwoA_0_0_9_0 = (0*LSCA)*(MT0I+PAD) + (9*LSPA) = 9504
v_mfma_f32_16x16x16_bf16 a[200+0:203+0], v[vgprValuB_X0_I0+6+0+0:vgprValuB_X0_I0+6+0+0+1], v[vgprValuA_X0_I0+4+0+0:vgprValuA_X0_I0+4+0+0+1], a[200:203]
/*  mfmaIndex:62  */
_buffer_load_b32 v[vgprG2LA+9], v[vgprGlobalReadOffsetA+0], s[sgprSrdA:sgprSrdA+3], s[sgprScalarGlobalReadOffsetA+8], offen offset:0 // G -> Reg 0_0_9_0
v_mfma_f32_16x16x16_bf16 a[196+0:199+0], v[vgprValuB_X0_I0+6+0+0:vgprValuB_X0_I0+6+0+0+1], v[vgprValuA_X0_I0+2+0+0:vgprValuA_X0_I0+2+0+0+1], a[196:199]
/*  mfmaIndex:63  */

/* local read swap offsets a */

/* local read swap offsets b */

/* local read init pointers a */

/* localReadInitPointers */

/* local read init pointers b */

/* localReadInitPointers */
v_mfma_f32_16x16x16_bf16 a[192+0:195+0], v[vgprValuB_X0_I0+6+0+0:vgprValuB_X0_I0+6+0+0+1], v[vgprValuA_X0_I0+0+0+0:vgprValuA_X0_I0+0+0+0+1], a[192:195]
/* numPrefetchIter=0 */
/* dataAtIterA=-1 numReadsIterA=1 skipReadsIterA=1 readsPerIterA=16 */
/* dataAtIterB=-1 numReadsIterB=1 skipReadsIterB=1 readsPerIterB=4 */


/* iter 1 (swap and reset local write pointers iteration)  */

/*  grEndMfmaIndex:18, lwStartMfmaIndex:26, lwEndMfmaIndex:101  */
/*  numMfmaForLR:24, barrierMfmaIndex:103, LocalWritePerMfma:0.255 */
/*  mfmaIndex:64  */
v_mfma_f32_16x16x16_bf16 a[0+0:3+0], v[vgprValuB_X1_I0+0+0+0:vgprValuB_X1_I0+0+0+0+1], v[vgprValuA_X1_I0+0+0+0:vgprValuA_X1_I0+0+0+0+1], a[0:3]
/*  mfmaIndex:65  */
/* sched write - iter 1 writesPerItem=1 */
s_waitcnt vmcnt(0)                                 // lgkmcnt=-1 vmcnt=0wait for global read before writing to local
_ds_store_b32 v[vgprLocalWriteAddrA], v[vgprG2LA+10] offset:10560 // lwoA_0_0_10_0 = (0*LSCA)*(MT0I+PAD) + (10*LSPA) = 10560
v_mfma_f32_16x16x16_bf16 a[4+0:7+0], v[vgprValuB_X1_I0+0+0+0:vgprValuB_X1_I0+0+0+0+1], v[vgprValuA_X1_I0+2+0+0:vgprValuA_X1_I0+2+0+0+1], a[4:7]
/*  mfmaIndex:66  */
_buffer_load_b32 v[vgprG2LA+10], v[vgprGlobalReadOffsetA+0], s[sgprSrdA:sgprSrdA+3], s[sgprScalarGlobalReadOffsetA+9], offen offset:0 // G -> Reg 0_0_10_0
v_mfma_f32_16x16x16_bf16 a[8+0:11+0], v[vgprValuB_X1_I0+0+0+0:vgprValuB_X1_I0+0+0+0+1], v[vgprValuA_X1_I0+4+0+0:vgprValuA_X1_I0+4+0+0+1], a[8:11]
/*  mfmaIndex:67  */
v_mfma_f32_16x16x16_bf16 a[12+0:15+0], v[vgprValuB_X1_I0+0+0+0:vgprValuB_X1_I0+0+0+0+1], v[vgprValuA_X1_I0+6+0+0:vgprValuA_X1_I0+6+0+0+1], a[12:15]
/*  mfmaIndex:68  */
	;; [unrolled: 2-line block ×3, first 2 shown]
/* sched write - iter 1 writesPerItem=1 */
s_waitcnt vmcnt(0)                                 // lgkmcnt=-1 vmcnt=0wait for global read before writing to local
_ds_store_b32 v[vgprLocalWriteAddrA], v[vgprG2LA+11] offset:11616 // lwoA_0_0_11_0 = (0*LSCA)*(MT0I+PAD) + (11*LSPA) = 11616
v_mfma_f32_16x16x16_bf16 a[20+0:23+0], v[vgprValuB_X1_I0+0+0+0:vgprValuB_X1_I0+0+0+0+1], v[vgprValuA_X1_I0+10+0+0:vgprValuA_X1_I0+10+0+0+1], a[20:23]
/*  mfmaIndex:70  */
_buffer_load_b32 v[vgprG2LA+11], v[vgprGlobalReadOffsetA+0], s[sgprSrdA:sgprSrdA+3], s[sgprScalarGlobalReadOffsetA+10], offen offset:0 // G -> Reg 0_0_11_0
v_mfma_f32_16x16x16_bf16 a[24+0:27+0], v[vgprValuB_X1_I0+0+0+0:vgprValuB_X1_I0+0+0+0+1], v[vgprValuA_X1_I0+12+0+0:vgprValuA_X1_I0+12+0+0+1], a[24:27]
/*  mfmaIndex:71  */
v_mfma_f32_16x16x16_bf16 a[28+0:31+0], v[vgprValuB_X1_I0+0+0+0:vgprValuB_X1_I0+0+0+0+1], v[vgprValuA_X1_I0+14+0+0:vgprValuA_X1_I0+14+0+0+1], a[28:31]
/*  mfmaIndex:72  */
	;; [unrolled: 2-line block ×3, first 2 shown]
/* sched write - iter 1 writesPerItem=1 */
s_waitcnt vmcnt(0)                                 // lgkmcnt=-1 vmcnt=0wait for global read before writing to local
_ds_store_b32 v[vgprLocalWriteAddrA], v[vgprG2LA+12] offset:12672 // lwoA_0_0_12_0 = (0*LSCA)*(MT0I+PAD) + (12*LSPA) = 12672
v_mfma_f32_16x16x16_bf16 a[36+0:39+0], v[vgprValuB_X1_I0+0+0+0:vgprValuB_X1_I0+0+0+0+1], v[vgprValuA_X1_I0+18+0+0:vgprValuA_X1_I0+18+0+0+1], a[36:39]
/*  mfmaIndex:74  */
_buffer_load_b32 v[vgprG2LA+12], v[vgprGlobalReadOffsetA+0], s[sgprSrdA:sgprSrdA+3], s[sgprScalarGlobalReadOffsetA+11], offen offset:0 // G -> Reg 0_0_12_0
v_mfma_f32_16x16x16_bf16 a[40+0:43+0], v[vgprValuB_X1_I0+0+0+0:vgprValuB_X1_I0+0+0+0+1], v[vgprValuA_X1_I0+20+0+0:vgprValuA_X1_I0+20+0+0+1], a[40:43]
/*  mfmaIndex:75  */
v_mfma_f32_16x16x16_bf16 a[44+0:47+0], v[vgprValuB_X1_I0+0+0+0:vgprValuB_X1_I0+0+0+0+1], v[vgprValuA_X1_I0+22+0+0:vgprValuA_X1_I0+22+0+0+1], a[44:47]
/*  mfmaIndex:76  */
/* sched write - iter 1 writesPerItem=1 */
s_waitcnt vmcnt(0)                                 // lgkmcnt=-1 vmcnt=0wait for global read before writing to local
_ds_store_b32 v[vgprLocalWriteAddrA], v[vgprG2LA+13] offset:13728 // lwoA_0_0_13_0 = (0*LSCA)*(MT0I+PAD) + (13*LSPA) = 13728
v_mfma_f32_16x16x16_bf16 a[48+0:51+0], v[vgprValuB_X1_I0+0+0+0:vgprValuB_X1_I0+0+0+0+1], v[vgprValuA_X1_I0+24+0+0:vgprValuA_X1_I0+24+0+0+1], a[48:51]
/*  mfmaIndex:77  */
_buffer_load_b32 v[vgprG2LA+13], v[vgprGlobalReadOffsetA+0], s[sgprSrdA:sgprSrdA+3], s[sgprScalarGlobalReadOffsetA+12], offen offset:0 // G -> Reg 0_0_13_0
v_mfma_f32_16x16x16_bf16 a[52+0:55+0], v[vgprValuB_X1_I0+0+0+0:vgprValuB_X1_I0+0+0+0+1], v[vgprValuA_X1_I0+26+0+0:vgprValuA_X1_I0+26+0+0+1], a[52:55]
/*  mfmaIndex:78  */
v_mfma_f32_16x16x16_bf16 a[56+0:59+0], v[vgprValuB_X1_I0+0+0+0:vgprValuB_X1_I0+0+0+0+1], v[vgprValuA_X1_I0+28+0+0:vgprValuA_X1_I0+28+0+0+1], a[56:59]
/*  mfmaIndex:79  */
	;; [unrolled: 2-line block ×3, first 2 shown]
/* sched write - iter 1 writesPerItem=1 */
s_waitcnt vmcnt(0)                                 // lgkmcnt=-1 vmcnt=0wait for global read before writing to local
_ds_store_b32 v[vgprLocalWriteAddrA], v[vgprG2LA+14] offset:14784 // lwoA_0_0_14_0 = (0*LSCA)*(MT0I+PAD) + (14*LSPA) = 14784
v_mfma_f32_16x16x16_bf16 a[124+0:127+0], v[vgprValuB_X1_I0+2+0+0:vgprValuB_X1_I0+2+0+0+1], v[vgprValuA_X1_I0+30+0+0:vgprValuA_X1_I0+30+0+0+1], a[124:127]
/*  mfmaIndex:81  */
_buffer_load_b32 v[vgprG2LA+14], v[vgprGlobalReadOffsetA+0], s[sgprSrdA:sgprSrdA+3], s[sgprScalarGlobalReadOffsetA+13], offen offset:0 // G -> Reg 0_0_14_0
v_mfma_f32_16x16x16_bf16 a[120+0:123+0], v[vgprValuB_X1_I0+2+0+0:vgprValuB_X1_I0+2+0+0+1], v[vgprValuA_X1_I0+28+0+0:vgprValuA_X1_I0+28+0+0+1], a[120:123]
/*  mfmaIndex:82  */
v_mfma_f32_16x16x16_bf16 a[116+0:119+0], v[vgprValuB_X1_I0+2+0+0:vgprValuB_X1_I0+2+0+0+1], v[vgprValuA_X1_I0+26+0+0:vgprValuA_X1_I0+26+0+0+1], a[116:119]
/*  mfmaIndex:83  */
v_mfma_f32_16x16x16_bf16 a[112+0:115+0], v[vgprValuB_X1_I0+2+0+0:vgprValuB_X1_I0+2+0+0+1], v[vgprValuA_X1_I0+24+0+0:vgprValuA_X1_I0+24+0+0+1], a[112:115]
/*  mfmaIndex:84  */
/* sched write - iter 1 writesPerItem=1 */
s_waitcnt vmcnt(0)                                 // lgkmcnt=-1 vmcnt=0wait for global read before writing to local
_ds_store_b32 v[vgprLocalWriteAddrA], v[vgprG2LA+15] offset:15840 // lwoA_0_0_15_0 = (0*LSCA)*(MT0I+PAD) + (15*LSPA) = 15840
v_mfma_f32_16x16x16_bf16 a[108+0:111+0], v[vgprValuB_X1_I0+2+0+0:vgprValuB_X1_I0+2+0+0+1], v[vgprValuA_X1_I0+22+0+0:vgprValuA_X1_I0+22+0+0+1], a[108:111]
/*  mfmaIndex:85  */
_buffer_load_b32 v[vgprG2LA+15], v[vgprGlobalReadOffsetA+0], s[sgprSrdA:sgprSrdA+3], s[sgprScalarGlobalReadOffsetA+14], offen offset:0 // G -> Reg 0_0_15_0
v_mfma_f32_16x16x16_bf16 a[104+0:107+0], v[vgprValuB_X1_I0+2+0+0:vgprValuB_X1_I0+2+0+0+1], v[vgprValuA_X1_I0+20+0+0:vgprValuA_X1_I0+20+0+0+1], a[104:107]
/*  mfmaIndex:86  */
v_mfma_f32_16x16x16_bf16 a[100+0:103+0], v[vgprValuB_X1_I0+2+0+0:vgprValuB_X1_I0+2+0+0+1], v[vgprValuA_X1_I0+18+0+0:vgprValuA_X1_I0+18+0+0+1], a[100:103]
/*  mfmaIndex:87  */
	;; [unrolled: 2-line block ×3, first 2 shown]
/* sched write - iter 1 writesPerItem=1 */
s_waitcnt vmcnt(0)                                 // lgkmcnt=-1 vmcnt=0wait for global read before writing to local
_ds_store_b128 v[vgprLocalWriteAddrB], v[vgprG2LB+0:vgprG2LB+0+3] offset:0 // lwoB_0_0_0_0 = (0*LSCB)*(MT1J+PAD) + (0*LSPB) = 0
v_mfma_f32_16x16x16_bf16 a[92+0:95+0], v[vgprValuB_X1_I0+2+0+0:vgprValuB_X1_I0+2+0+0+1], v[vgprValuA_X1_I0+14+0+0:vgprValuA_X1_I0+14+0+0+1], a[92:95]
/*  mfmaIndex:89  */
_buffer_load_b128 v[vgprG2LB+0:vgprG2LB+0+3], v[vgprGlobalReadOffsetB+0], s[sgprSrdB:sgprSrdB+3], 0, offen offset:0 // G -> Reg 0_0_0_0
v_mfma_f32_16x16x16_bf16 a[88+0:91+0], v[vgprValuB_X1_I0+2+0+0:vgprValuB_X1_I0+2+0+0+1], v[vgprValuA_X1_I0+12+0+0:vgprValuA_X1_I0+12+0+0+1], a[88:91]
/*  mfmaIndex:90  */
v_mfma_f32_16x16x16_bf16 a[84+0:87+0], v[vgprValuB_X1_I0+2+0+0:vgprValuB_X1_I0+2+0+0+1], v[vgprValuA_X1_I0+10+0+0:vgprValuA_X1_I0+10+0+0+1], a[84:87]
/*  mfmaIndex:91  */
	;; [unrolled: 2-line block ×3, first 2 shown]
/* sched write - iter 1 writesPerItem=1 */
s_waitcnt vmcnt(0)                                 // lgkmcnt=-1 vmcnt=0wait for global read before writing to local
_ds_store_b128 v[vgprLocalWriteAddrB], v[vgprG2LB+4:vgprG2LB+4+3] offset:4608 // lwoB_0_0_1_0 = (0*LSCB)*(MT1J+PAD) + (1*LSPB) = 4608
v_mfma_f32_16x16x16_bf16 a[76+0:79+0], v[vgprValuB_X1_I0+2+0+0:vgprValuB_X1_I0+2+0+0+1], v[vgprValuA_X1_I0+6+0+0:vgprValuA_X1_I0+6+0+0+1], a[76:79]
/*  mfmaIndex:93  */
_buffer_load_b128 v[vgprG2LB+4:vgprG2LB+4+3], v[vgprGlobalReadOffsetB+0], s[sgprSrdB:sgprSrdB+3], s[sgprScalarGlobalReadOffsetB+0], offen offset:0 // G -> Reg 0_0_1_0
v_mfma_f32_16x16x16_bf16 a[72+0:75+0], v[vgprValuB_X1_I0+2+0+0:vgprValuB_X1_I0+2+0+0+1], v[vgprValuA_X1_I0+4+0+0:vgprValuA_X1_I0+4+0+0+1], a[72:75]
/*  mfmaIndex:94  */
v_mfma_f32_16x16x16_bf16 a[68+0:71+0], v[vgprValuB_X1_I0+2+0+0:vgprValuB_X1_I0+2+0+0+1], v[vgprValuA_X1_I0+2+0+0:vgprValuA_X1_I0+2+0+0+1], a[68:71]
/*  mfmaIndex:95  */
	;; [unrolled: 2-line block ×3, first 2 shown]
/* sched write - iter 1 writesPerItem=1 */
s_waitcnt vmcnt(0)                                 // lgkmcnt=-1 vmcnt=0wait for global read before writing to local
_ds_store_b128 v[vgprLocalWriteAddrB], v[vgprG2LB+8:vgprG2LB+8+3] offset:9216 // lwoB_0_0_2_0 = (0*LSCB)*(MT1J+PAD) + (2*LSPB) = 9216
v_mfma_f32_16x16x16_bf16 a[128+0:131+0], v[vgprValuB_X1_I0+4+0+0:vgprValuB_X1_I0+4+0+0+1], v[vgprValuA_X1_I0+0+0+0:vgprValuA_X1_I0+0+0+0+1], a[128:131]
/*  mfmaIndex:97  */
_buffer_load_b128 v[vgprG2LB+8:vgprG2LB+8+3], v[vgprGlobalReadOffsetB+0], s[sgprSrdB:sgprSrdB+3], s[sgprScalarGlobalReadOffsetB+1], offen offset:0 // G -> Reg 0_0_2_0
v_mfma_f32_16x16x16_bf16 a[132+0:135+0], v[vgprValuB_X1_I0+4+0+0:vgprValuB_X1_I0+4+0+0+1], v[vgprValuA_X1_I0+2+0+0:vgprValuA_X1_I0+2+0+0+1], a[132:135]
/*  mfmaIndex:98  */
v_mfma_f32_16x16x16_bf16 a[136+0:139+0], v[vgprValuB_X1_I0+4+0+0:vgprValuB_X1_I0+4+0+0+1], v[vgprValuA_X1_I0+4+0+0:vgprValuA_X1_I0+4+0+0+1], a[136:139]
/*  mfmaIndex:99  */
	;; [unrolled: 2-line block ×3, first 2 shown]
/* sched write - iter 1 writesPerItem=1 */
s_waitcnt vmcnt(0)                                 // lgkmcnt=-1 vmcnt=0wait for global read before writing to local
_ds_store_b128 v[vgprLocalWriteAddrB], v[vgprG2LB+12:vgprG2LB+12+3] offset:13824 // lwoB_0_0_3_0 = (0*LSCB)*(MT1J+PAD) + (3*LSPB) = 13824
v_mfma_f32_16x16x16_bf16 a[144+0:147+0], v[vgprValuB_X1_I0+4+0+0:vgprValuB_X1_I0+4+0+0+1], v[vgprValuA_X1_I0+8+0+0:vgprValuA_X1_I0+8+0+0+1], a[144:147]
/*  mfmaIndex:101  */
_buffer_load_b128 v[vgprG2LB+12:vgprG2LB+12+3], v[vgprGlobalReadOffsetB+0], s[sgprSrdB:sgprSrdB+3], s[sgprScalarGlobalReadOffsetB+2], offen offset:0 // G -> Reg 0_0_3_0

/* local write swap offsets a */

/* local write swap offsets b */
v_mfma_f32_16x16x16_bf16 a[148+0:151+0], v[vgprValuB_X1_I0+4+0+0:vgprValuB_X1_I0+4+0+0+1], v[vgprValuA_X1_I0+10+0+0:vgprValuA_X1_I0+10+0+0+1], a[148:151]
/*  mfmaIndex:102  */
v_mfma_f32_16x16x16_bf16 a[152+0:155+0], v[vgprValuB_X1_I0+4+0+0:vgprValuB_X1_I0+4+0+0+1], v[vgprValuA_X1_I0+12+0+0:vgprValuA_X1_I0+12+0+0+1], a[152:155]
s_setprio 0                                        // store optimization
/*  mfmaIndex:103  */
s_waitcnt lgkmcnt(0)                               // lgkmcnt=0 vmcnt=-13wait for local write
// Skip force waitcnt0
s_barrier //
v_mfma_f32_16x16x16_bf16 a[156+0:159+0], v[vgprValuB_X1_I0+4+0+0:vgprValuB_X1_I0+4+0+0+1], v[vgprValuA_X1_I0+14+0+0:vgprValuA_X1_I0+14+0+0+1], a[156:159]
/*  mfmaIndex:104  */
s_setprio 3                                        // store optimization
_ds_load_b64 v[vgprValuA_X0_I0+0:vgprValuA_X0_I0+0+1], v[vgprLocalReadAddrA] offset:0 // L -> Reg lro=0 swapByteOffset=0 ti=64 vIdx=0 rIdx=0 oIdx=0 buffer=0 iui=0
v_mfma_f32_16x16x16_bf16 a[160+0:163+0], v[vgprValuB_X1_I0+4+0+0:vgprValuB_X1_I0+4+0+0+1], v[vgprValuA_X1_I0+16+0+0:vgprValuA_X1_I0+16+0+0+1], a[160:163]
/*  mfmaIndex:105  */
_ds_load_b64 v[vgprValuB_X0_I0+0:vgprValuB_X0_I0+0+1], v[vgprLocalReadAddrB] offset:0 // L -> Reg lro=0 swapByteOffset=0 ti=64 vIdx=0 rIdx=0 oIdx=0 buffer=0 iui=0
v_mfma_f32_16x16x16_bf16 a[164+0:167+0], v[vgprValuB_X1_I0+4+0+0:vgprValuB_X1_I0+4+0+0+1], v[vgprValuA_X1_I0+18+0+0:vgprValuA_X1_I0+18+0+0+1], a[164:167]
/*  mfmaIndex:106  */
_ds_load_b64 v[vgprValuA_X0_I0+2:vgprValuA_X0_I0+2+1], v[vgprLocalReadAddrA] offset:64 // L -> Reg lro=0 swapByteOffset=0 ti=64 vIdx=0 rIdx=0 oIdx=0 buffer=0 iui=0
v_mfma_f32_16x16x16_bf16 a[168+0:171+0], v[vgprValuB_X1_I0+4+0+0:vgprValuB_X1_I0+4+0+0+1], v[vgprValuA_X1_I0+20+0+0:vgprValuA_X1_I0+20+0+0+1], a[168:171]
/*  mfmaIndex:107  */
_ds_load_b64 v[vgprValuA_X0_I0+4:vgprValuA_X0_I0+4+1], v[vgprLocalReadAddrA] offset:128 // L -> Reg lro=0 swapByteOffset=0 ti=64 vIdx=0 rIdx=0 oIdx=0 buffer=0 iui=0
	;; [unrolled: 3-line block ×15, first 2 shown]
v_mfma_f32_16x16x16_bf16 a[220+0:223+0], v[vgprValuB_X1_I0+6+0+0:vgprValuB_X1_I0+6+0+0+1], v[vgprValuA_X1_I0+14+0+0:vgprValuA_X1_I0+14+0+0+1], a[220:223]
/*  mfmaIndex:121  */
_ds_load_b64 v[vgprValuB_X0_I0+2:vgprValuB_X0_I0+2+1], v[vgprLocalReadAddrB] offset:4608 // L -> Reg lro=0 swapByteOffset=0 ti=64 vIdx=1 rIdx=0 oIdx=0 buffer=0 iui=0
v_mfma_f32_16x16x16_bf16 a[216+0:219+0], v[vgprValuB_X1_I0+6+0+0:vgprValuB_X1_I0+6+0+0+1], v[vgprValuA_X1_I0+12+0+0:vgprValuA_X1_I0+12+0+0+1], a[216:219]
/*  mfmaIndex:122  */
_ds_load_b64 v[vgprValuB_X0_I0+4:vgprValuB_X0_I0+4+1], v[vgprLocalReadAddrB] offset:9216 // L -> Reg lro=0 swapByteOffset=0 ti=64 vIdx=2 rIdx=0 oIdx=0 buffer=0 iui=0
	;; [unrolled: 3-line block ×3, first 2 shown]
v_mfma_f32_16x16x16_bf16 a[208+0:211+0], v[vgprValuB_X1_I0+6+0+0:vgprValuB_X1_I0+6+0+0+1], v[vgprValuA_X1_I0+8+0+0:vgprValuA_X1_I0+8+0+0+1], a[208:211]
/*  mfmaIndex:124  */
v_mfma_f32_16x16x16_bf16 a[204+0:207+0], v[vgprValuB_X1_I0+6+0+0:vgprValuB_X1_I0+6+0+0+1], v[vgprValuA_X1_I0+6+0+0:vgprValuA_X1_I0+6+0+0+1], a[204:207]
/*  mfmaIndex:125  */
v_mfma_f32_16x16x16_bf16 a[200+0:203+0], v[vgprValuB_X1_I0+6+0+0:vgprValuB_X1_I0+6+0+0+1], v[vgprValuA_X1_I0+4+0+0:vgprValuA_X1_I0+4+0+0+1], a[200:203]
/*  mfmaIndex:126  */
v_mfma_f32_16x16x16_bf16 a[196+0:199+0], v[vgprValuB_X1_I0+6+0+0:vgprValuB_X1_I0+6+0+0+1], v[vgprValuA_X1_I0+2+0+0:vgprValuA_X1_I0+2+0+0+1], a[196:199]
/*  mfmaIndex:127  */
v_mfma_f32_16x16x16_bf16 a[192+0:195+0], v[vgprValuB_X1_I0+6+0+0:vgprValuB_X1_I0+6+0+0+1], v[vgprValuA_X1_I0+0+0+0:vgprValuA_X1_I0+0+0+0+1], a[192:195]
s_setprio 0                                        // store optimization


/******************************************/
/* Unrolled Loop - End 2/2 (final)        */
/******************************************/


/* closeLoop loopL finalLoop=1 tailLoop=0 */
s_sub_u32 s[sgprLoopCounterL], s[sgprLoopCounterL], 1 // dec counterL
s_cmp_eq_i32 s[sgprLoopCounterL], 0x2              // counterL==2
s_cbranch_scc0 LoopBeginL_1                        // restart LoopL
LoopEndL_evenexit_4: // unroll loop eveniter exit
s_branch LoopEndL_2                                // exit unroll loopL (and skip second exit code)
LoopEndL_oddexit_3: // unroll loop odditer exit

/* Select high bank of LDS */
LoopEndL_2:


/* Before NLL: Check VGPR.checkin for INT8 LW */


/******************************************/
/* Ord. NoGlobalLoadLoop - Begin                                      */
/******************************************/


	;; [unrolled: 1-line block ×3, first 2 shown]
/* iter 0 (reset local read pointers iteration)  (swap local read pointers iteration)  */

/*  grEndMfmaIndex:18, lwStartMfmaIndex:26, lwEndMfmaIndex:101  */
/*  numMfmaForLR:24, barrierMfmaIndex:103, LocalWritePerMfma:0.255 */
/*  mfmaIndex:0  */
s_waitcnt lgkmcnt(0)                               // lgkmcnt=0 vmcnt=-1wait for prior local read local write old=0, new=0 newLW=0 newLR=0
v_mfma_f32_16x16x16_bf16 a[0+0:3+0], v[vgprValuB_X0_I0+0+0+0:vgprValuB_X0_I0+0+0+0+1], v[vgprValuA_X0_I0+0+0+0:vgprValuA_X0_I0+0+0+0+1], a[0:3]
/*  mfmaIndex:1  */
_ds_load_b64 v[vgprValuA_X1_I0+0:vgprValuA_X1_I0+0+1], v[vgprLocalReadAddrA] offset:32 // L -> Reg lro=16 swapByteOffset=0 ti=64 vIdx=0 rIdx=0 oIdx=0 buffer=1 iui=0

/* global read inc A loopL */
s_cmp_eq_u32 s[sgprLoopCounterL], s[sgprStaggerUIter] // Is this the wrapIter?
v_mfma_f32_16x16x16_bf16 a[4+0:7+0], v[vgprValuB_X0_I0+0+0+0:vgprValuB_X0_I0+0+0+0+1], v[vgprValuA_X0_I0+2+0+0:vgprValuA_X0_I0+2+0+0+1], a[4:7]
/*  mfmaIndex:2  */
_ds_load_b64 v[vgprValuB_X1_I0+0:vgprValuB_X1_I0+0+1], v[vgprLocalReadAddrB] offset:32 // L -> Reg lro=16 swapByteOffset=0 ti=64 vIdx=0 rIdx=0 oIdx=0 buffer=1 iui=0
s_cselect_b32 s76, s[sgprWrapUA+0], s[sgprGlobalReadIncsA+0] // incLower <- ?
v_mfma_f32_16x16x16_bf16 a[8+0:11+0], v[vgprValuB_X0_I0+0+0+0:vgprValuB_X0_I0+0+0+0+1], v[vgprValuA_X0_I0+4+0+0:vgprValuA_X0_I0+4+0+0+1], a[8:11]
/*  mfmaIndex:3  */
_ds_load_b64 v[vgprValuA_X1_I0+2:vgprValuA_X1_I0+2+1], v[vgprLocalReadAddrA] offset:96 // L -> Reg lro=16 swapByteOffset=0 ti=64 vIdx=0 rIdx=0 oIdx=0 buffer=1 iui=0
s_cselect_b32 s77, s[sgprWrapUA+1], 0              // incUpper <- ?
v_mfma_f32_16x16x16_bf16 a[12+0:15+0], v[vgprValuB_X0_I0+0+0+0:vgprValuB_X0_I0+0+0+0+1], v[vgprValuA_X0_I0+6+0+0:vgprValuA_X0_I0+6+0+0+1], a[12:15]
/*  mfmaIndex:4  */
_ds_load_b64 v[vgprValuA_X1_I0+4:vgprValuA_X1_I0+4+1], v[vgprLocalReadAddrA] offset:160 // L -> Reg lro=16 swapByteOffset=0 ti=64 vIdx=0 rIdx=0 oIdx=0 buffer=1 iui=0
s_add_u32 s[sgprSrdA+0], s[sgprSrdA+0], s76        // gra SRD += inc(lower)
v_mfma_f32_16x16x16_bf16 a[16+0:19+0], v[vgprValuB_X0_I0+0+0+0:vgprValuB_X0_I0+0+0+0+1], v[vgprValuA_X0_I0+8+0+0:vgprValuA_X0_I0+8+0+0+1], a[16:19]
/*  mfmaIndex:5  */
_ds_load_b64 v[vgprValuA_X1_I0+6:vgprValuA_X1_I0+6+1], v[vgprLocalReadAddrA] offset:224 // L -> Reg lro=16 swapByteOffset=0 ti=64 vIdx=0 rIdx=0 oIdx=0 buffer=1 iui=0
s_addc_u32  s[sgprSrdA+1], s[sgprSrdA+1], s77      // gra SRD += inc(upper)
v_mfma_f32_16x16x16_bf16 a[20+0:23+0], v[vgprValuB_X0_I0+0+0+0:vgprValuB_X0_I0+0+0+0+1], v[vgprValuA_X0_I0+10+0+0:vgprValuA_X0_I0+10+0+0+1], a[20:23]
/*  mfmaIndex:6  */
_ds_load_b64 v[vgprValuA_X1_I0+8:vgprValuA_X1_I0+8+1], v[vgprLocalReadAddrA] offset:4256 // L -> Reg lro=16 swapByteOffset=0 ti=64 vIdx=1 rIdx=0 oIdx=0 buffer=1 iui=0
s_sub_u32 s[sgprShadowLimitA+0], s[sgprShadowLimitA+0], s76 // limit -= inc)
v_mfma_f32_16x16x16_bf16 a[24+0:27+0], v[vgprValuB_X0_I0+0+0+0:vgprValuB_X0_I0+0+0+0+1], v[vgprValuA_X0_I0+12+0+0:vgprValuA_X0_I0+12+0+0+1], a[24:27]
/*  mfmaIndex:7  */
_ds_load_b64 v[vgprValuA_X1_I0+10:vgprValuA_X1_I0+10+1], v[vgprLocalReadAddrA] offset:4320 // L -> Reg lro=16 swapByteOffset=0 ti=64 vIdx=1 rIdx=0 oIdx=0 buffer=1 iui=0
s_subb_u32 s[sgprShadowLimitA+1], s[sgprShadowLimitA+1], s77 // limit -= inc)
v_mfma_f32_16x16x16_bf16 a[28+0:31+0], v[vgprValuB_X0_I0+0+0+0:vgprValuB_X0_I0+0+0+0+1], v[vgprValuA_X0_I0+14+0+0:vgprValuA_X0_I0+14+0+0+1], a[28:31]
/*  mfmaIndex:8  */
_ds_load_b64 v[vgprValuA_X1_I0+12:vgprValuA_X1_I0+12+1], v[vgprLocalReadAddrA] offset:4384 // L -> Reg lro=16 swapByteOffset=0 ti=64 vIdx=1 rIdx=0 oIdx=0 buffer=1 iui=0
s_cmp_eq_u32 s[sgprShadowLimitA+1], 0              // are we within 2^32?
v_mfma_f32_16x16x16_bf16 a[32+0:35+0], v[vgprValuB_X0_I0+0+0+0:vgprValuB_X0_I0+0+0+0+1], v[vgprValuA_X0_I0+16+0+0:vgprValuA_X0_I0+16+0+0+1], a[32:35]
/*  mfmaIndex:9  */
_ds_load_b64 v[vgprValuA_X1_I0+14:vgprValuA_X1_I0+14+1], v[vgprLocalReadAddrA] offset:4448 // L -> Reg lro=16 swapByteOffset=0 ti=64 vIdx=1 rIdx=0 oIdx=0 buffer=1 iui=0
s_cselect_b32 s[sgprSrdA+2], s[sgprShadowLimitA+0], BufferLimitA // Move shadow to real if we are within 2^32
v_mfma_f32_16x16x16_bf16 a[36+0:39+0], v[vgprValuB_X0_I0+0+0+0:vgprValuB_X0_I0+0+0+0+1], v[vgprValuA_X0_I0+18+0+0:vgprValuA_X0_I0+18+0+0+1], a[36:39]
/*  mfmaIndex:10  */
_ds_load_b64 v[vgprValuA_X1_I0+16:vgprValuA_X1_I0+16+1], v[vgprLocalReadAddrA] offset:8480 // L -> Reg lro=16 swapByteOffset=0 ti=64 vIdx=2 rIdx=0 oIdx=0 buffer=1 iui=0

/* global read inc B loopL */
s_cmp_eq_u32 s[sgprLoopCounterL], s[sgprStaggerUIter] // Is this the wrapIter?
v_mfma_f32_16x16x16_bf16 a[40+0:43+0], v[vgprValuB_X0_I0+0+0+0:vgprValuB_X0_I0+0+0+0+1], v[vgprValuA_X0_I0+20+0+0:vgprValuA_X0_I0+20+0+0+1], a[40:43]
/*  mfmaIndex:11  */
_ds_load_b64 v[vgprValuA_X1_I0+18:vgprValuA_X1_I0+18+1], v[vgprLocalReadAddrA] offset:8544 // L -> Reg lro=16 swapByteOffset=0 ti=64 vIdx=2 rIdx=0 oIdx=0 buffer=1 iui=0
s_cselect_b32 s76, s[sgprWrapUB+0], s[sgprGlobalReadIncsB+0] // incLower <- ?
v_mfma_f32_16x16x16_bf16 a[44+0:47+0], v[vgprValuB_X0_I0+0+0+0:vgprValuB_X0_I0+0+0+0+1], v[vgprValuA_X0_I0+22+0+0:vgprValuA_X0_I0+22+0+0+1], a[44:47]
/*  mfmaIndex:12  */
_ds_load_b64 v[vgprValuA_X1_I0+20:vgprValuA_X1_I0+20+1], v[vgprLocalReadAddrA] offset:8608 // L -> Reg lro=16 swapByteOffset=0 ti=64 vIdx=2 rIdx=0 oIdx=0 buffer=1 iui=0
s_cselect_b32 s77, s[sgprWrapUB+1], 0              // incUpper <- ?
v_mfma_f32_16x16x16_bf16 a[48+0:51+0], v[vgprValuB_X0_I0+0+0+0:vgprValuB_X0_I0+0+0+0+1], v[vgprValuA_X0_I0+24+0+0:vgprValuA_X0_I0+24+0+0+1], a[48:51]
/*  mfmaIndex:13  */
_ds_load_b64 v[vgprValuA_X1_I0+22:vgprValuA_X1_I0+22+1], v[vgprLocalReadAddrA] offset:8672 // L -> Reg lro=16 swapByteOffset=0 ti=64 vIdx=2 rIdx=0 oIdx=0 buffer=1 iui=0
s_add_u32 s[sgprSrdB+0], s[sgprSrdB+0], s76        // gra SRD += inc(lower)
v_mfma_f32_16x16x16_bf16 a[52+0:55+0], v[vgprValuB_X0_I0+0+0+0:vgprValuB_X0_I0+0+0+0+1], v[vgprValuA_X0_I0+26+0+0:vgprValuA_X0_I0+26+0+0+1], a[52:55]
/*  mfmaIndex:14  */
_ds_load_b64 v[vgprValuA_X1_I0+24:vgprValuA_X1_I0+24+1], v[vgprLocalReadAddrA] offset:12704 // L -> Reg lro=16 swapByteOffset=0 ti=64 vIdx=3 rIdx=0 oIdx=0 buffer=1 iui=0
s_addc_u32  s[sgprSrdB+1], s[sgprSrdB+1], s77      // gra SRD += inc(upper)
v_mfma_f32_16x16x16_bf16 a[56+0:59+0], v[vgprValuB_X0_I0+0+0+0:vgprValuB_X0_I0+0+0+0+1], v[vgprValuA_X0_I0+28+0+0:vgprValuA_X0_I0+28+0+0+1], a[56:59]
/*  mfmaIndex:15  */
_ds_load_b64 v[vgprValuA_X1_I0+26:vgprValuA_X1_I0+26+1], v[vgprLocalReadAddrA] offset:12768 // L -> Reg lro=16 swapByteOffset=0 ti=64 vIdx=3 rIdx=0 oIdx=0 buffer=1 iui=0
s_sub_u32 s[sgprShadowLimitB+0], s[sgprShadowLimitB+0], s76 // limit -= inc)
v_mfma_f32_16x16x16_bf16 a[60+0:63+0], v[vgprValuB_X0_I0+0+0+0:vgprValuB_X0_I0+0+0+0+1], v[vgprValuA_X0_I0+30+0+0:vgprValuA_X0_I0+30+0+0+1], a[60:63]
/*  mfmaIndex:16  */
_ds_load_b64 v[vgprValuA_X1_I0+28:vgprValuA_X1_I0+28+1], v[vgprLocalReadAddrA] offset:12832 // L -> Reg lro=16 swapByteOffset=0 ti=64 vIdx=3 rIdx=0 oIdx=0 buffer=1 iui=0
s_subb_u32 s[sgprShadowLimitB+1], s[sgprShadowLimitB+1], s77 // limit -= inc)
v_mfma_f32_16x16x16_bf16 a[124+0:127+0], v[vgprValuB_X0_I0+2+0+0:vgprValuB_X0_I0+2+0+0+1], v[vgprValuA_X0_I0+30+0+0:vgprValuA_X0_I0+30+0+0+1], a[124:127]
/*  mfmaIndex:17  */
_ds_load_b64 v[vgprValuA_X1_I0+30:vgprValuA_X1_I0+30+1], v[vgprLocalReadAddrA] offset:12896 // L -> Reg lro=16 swapByteOffset=0 ti=64 vIdx=3 rIdx=0 oIdx=0 buffer=1 iui=0
s_cmp_eq_u32 s[sgprShadowLimitB+1], 0              // are we within 2^32?
v_mfma_f32_16x16x16_bf16 a[120+0:123+0], v[vgprValuB_X0_I0+2+0+0:vgprValuB_X0_I0+2+0+0+1], v[vgprValuA_X0_I0+28+0+0:vgprValuA_X0_I0+28+0+0+1], a[120:123]
/*  mfmaIndex:18  */
_ds_load_b64 v[vgprValuB_X1_I0+2:vgprValuB_X1_I0+2+1], v[vgprLocalReadAddrB] offset:4640 // L -> Reg lro=16 swapByteOffset=0 ti=64 vIdx=1 rIdx=0 oIdx=0 buffer=1 iui=0
s_cselect_b32 s[sgprSrdB+2], s[sgprShadowLimitB+0], BufferLimitB // Move shadow to real if we are within 2^32
v_mfma_f32_16x16x16_bf16 a[116+0:119+0], v[vgprValuB_X0_I0+2+0+0:vgprValuB_X0_I0+2+0+0+1], v[vgprValuA_X0_I0+26+0+0:vgprValuA_X0_I0+26+0+0+1], a[116:119]
/*  mfmaIndex:19  */
_ds_load_b64 v[vgprValuB_X1_I0+4:vgprValuB_X1_I0+4+1], v[vgprLocalReadAddrB] offset:9248 // L -> Reg lro=16 swapByteOffset=0 ti=64 vIdx=2 rIdx=0 oIdx=0 buffer=1 iui=0
v_mfma_f32_16x16x16_bf16 a[112+0:115+0], v[vgprValuB_X0_I0+2+0+0:vgprValuB_X0_I0+2+0+0+1], v[vgprValuA_X0_I0+24+0+0:vgprValuA_X0_I0+24+0+0+1], a[112:115]
/*  mfmaIndex:20  */
_ds_load_b64 v[vgprValuB_X1_I0+6:vgprValuB_X1_I0+6+1], v[vgprLocalReadAddrB] offset:13856 // L -> Reg lro=16 swapByteOffset=0 ti=64 vIdx=3 rIdx=0 oIdx=0 buffer=1 iui=0
v_mfma_f32_16x16x16_bf16 a[108+0:111+0], v[vgprValuB_X0_I0+2+0+0:vgprValuB_X0_I0+2+0+0+1], v[vgprValuA_X0_I0+22+0+0:vgprValuA_X0_I0+22+0+0+1], a[108:111]
/*  mfmaIndex:21  */
/* localReadsVacancy: latencyLeft 2 */
v_mfma_f32_16x16x16_bf16 a[104+0:107+0], v[vgprValuB_X0_I0+2+0+0:vgprValuB_X0_I0+2+0+0+1], v[vgprValuA_X0_I0+20+0+0:vgprValuA_X0_I0+20+0+0+1], a[104:107]
/*  mfmaIndex:22  */
/* localReadsVacancy: latencyLeft 2 */
	;; [unrolled: 3-line block ×5, first 2 shown]
/* 1 LDS buffer: read-sync-write */
s_waitcnt lgkmcnt(0)                               // 
s_barrier                                          // 
v_mfma_f32_16x16x16_bf16 a[88+0:91+0], v[vgprValuB_X0_I0+2+0+0:vgprValuB_X0_I0+2+0+0+1], v[vgprValuA_X0_I0+12+0+0:vgprValuA_X0_I0+12+0+0+1], a[88:91]
/*  mfmaIndex:26  */
s_setprio 3                                        // store optimization
/* sched write - iter 0 writesPerItem=1 */
s_waitcnt vmcnt(0)                                 // lgkmcnt=-1 vmcnt=0wait for global read before writing to local
_ds_store_b32 v[vgprLocalWriteAddrA], v[vgprG2LA+0] offset:0 // lwoA_0_0_0_0 = (0*LSCA)*(MT0I+PAD) + (0*LSPA) = 0
v_mfma_f32_16x16x16_bf16 a[84+0:87+0], v[vgprValuB_X0_I0+2+0+0:vgprValuB_X0_I0+2+0+0+1], v[vgprValuA_X0_I0+10+0+0:vgprValuA_X0_I0+10+0+0+1], a[84:87]
/*  mfmaIndex:27  */
v_mfma_f32_16x16x16_bf16 a[80+0:83+0], v[vgprValuB_X0_I0+2+0+0:vgprValuB_X0_I0+2+0+0+1], v[vgprValuA_X0_I0+8+0+0:vgprValuA_X0_I0+8+0+0+1], a[80:83]
/*  mfmaIndex:28  */
	;; [unrolled: 2-line block ×3, first 2 shown]
/* sched write - iter 0 writesPerItem=1 */
s_waitcnt vmcnt(0)                                 // lgkmcnt=-1 vmcnt=0wait for global read before writing to local
_ds_store_b32 v[vgprLocalWriteAddrA], v[vgprG2LA+1] offset:1056 // lwoA_0_0_1_0 = (0*LSCA)*(MT0I+PAD) + (1*LSPA) = 1056
v_mfma_f32_16x16x16_bf16 a[72+0:75+0], v[vgprValuB_X0_I0+2+0+0:vgprValuB_X0_I0+2+0+0+1], v[vgprValuA_X0_I0+4+0+0:vgprValuA_X0_I0+4+0+0+1], a[72:75]
/*  mfmaIndex:30  */
v_mfma_f32_16x16x16_bf16 a[68+0:71+0], v[vgprValuB_X0_I0+2+0+0:vgprValuB_X0_I0+2+0+0+1], v[vgprValuA_X0_I0+2+0+0:vgprValuA_X0_I0+2+0+0+1], a[68:71]
/*  mfmaIndex:31  */
	;; [unrolled: 2-line block ×4, first 2 shown]
/* sched write - iter 0 writesPerItem=1 */
s_waitcnt vmcnt(0)                                 // lgkmcnt=-1 vmcnt=0wait for global read before writing to local
_ds_store_b32 v[vgprLocalWriteAddrA], v[vgprG2LA+2] offset:2112 // lwoA_0_0_2_0 = (0*LSCA)*(MT0I+PAD) + (2*LSPA) = 2112
v_mfma_f32_16x16x16_bf16 a[132+0:135+0], v[vgprValuB_X0_I0+4+0+0:vgprValuB_X0_I0+4+0+0+1], v[vgprValuA_X0_I0+2+0+0:vgprValuA_X0_I0+2+0+0+1], a[132:135]
/*  mfmaIndex:34  */
v_mfma_f32_16x16x16_bf16 a[136+0:139+0], v[vgprValuB_X0_I0+4+0+0:vgprValuB_X0_I0+4+0+0+1], v[vgprValuA_X0_I0+4+0+0:vgprValuA_X0_I0+4+0+0+1], a[136:139]
/*  mfmaIndex:35  */
	;; [unrolled: 2-line block ×4, first 2 shown]
/* sched write - iter 0 writesPerItem=1 */
s_waitcnt vmcnt(0)                                 // lgkmcnt=-1 vmcnt=0wait for global read before writing to local
_ds_store_b32 v[vgprLocalWriteAddrA], v[vgprG2LA+3] offset:3168 // lwoA_0_0_3_0 = (0*LSCA)*(MT0I+PAD) + (3*LSPA) = 3168
v_mfma_f32_16x16x16_bf16 a[148+0:151+0], v[vgprValuB_X0_I0+4+0+0:vgprValuB_X0_I0+4+0+0+1], v[vgprValuA_X0_I0+10+0+0:vgprValuA_X0_I0+10+0+0+1], a[148:151]
/*  mfmaIndex:38  */
v_mfma_f32_16x16x16_bf16 a[152+0:155+0], v[vgprValuB_X0_I0+4+0+0:vgprValuB_X0_I0+4+0+0+1], v[vgprValuA_X0_I0+12+0+0:vgprValuA_X0_I0+12+0+0+1], a[152:155]
/*  mfmaIndex:39  */
	;; [unrolled: 2-line block ×4, first 2 shown]
/* sched write - iter 0 writesPerItem=1 */
s_waitcnt vmcnt(0)                                 // lgkmcnt=-1 vmcnt=0wait for global read before writing to local
_ds_store_b32 v[vgprLocalWriteAddrA], v[vgprG2LA+4] offset:4224 // lwoA_0_0_4_0 = (0*LSCA)*(MT0I+PAD) + (4*LSPA) = 4224
v_mfma_f32_16x16x16_bf16 a[164+0:167+0], v[vgprValuB_X0_I0+4+0+0:vgprValuB_X0_I0+4+0+0+1], v[vgprValuA_X0_I0+18+0+0:vgprValuA_X0_I0+18+0+0+1], a[164:167]
/*  mfmaIndex:42  */
v_mfma_f32_16x16x16_bf16 a[168+0:171+0], v[vgprValuB_X0_I0+4+0+0:vgprValuB_X0_I0+4+0+0+1], v[vgprValuA_X0_I0+20+0+0:vgprValuA_X0_I0+20+0+0+1], a[168:171]
/*  mfmaIndex:43  */
	;; [unrolled: 2-line block ×4, first 2 shown]
/* sched write - iter 0 writesPerItem=1 */
s_waitcnt vmcnt(0)                                 // lgkmcnt=-1 vmcnt=0wait for global read before writing to local
_ds_store_b32 v[vgprLocalWriteAddrA], v[vgprG2LA+5] offset:5280 // lwoA_0_0_5_0 = (0*LSCA)*(MT0I+PAD) + (5*LSPA) = 5280
v_mfma_f32_16x16x16_bf16 a[180+0:183+0], v[vgprValuB_X0_I0+4+0+0:vgprValuB_X0_I0+4+0+0+1], v[vgprValuA_X0_I0+26+0+0:vgprValuA_X0_I0+26+0+0+1], a[180:183]
/*  mfmaIndex:46  */
v_mfma_f32_16x16x16_bf16 a[184+0:187+0], v[vgprValuB_X0_I0+4+0+0:vgprValuB_X0_I0+4+0+0+1], v[vgprValuA_X0_I0+28+0+0:vgprValuA_X0_I0+28+0+0+1], a[184:187]
/*  mfmaIndex:47  */
	;; [unrolled: 2-line block ×4, first 2 shown]
/* sched write - iter 0 writesPerItem=1 */
s_waitcnt vmcnt(0)                                 // lgkmcnt=-1 vmcnt=0wait for global read before writing to local
_ds_store_b32 v[vgprLocalWriteAddrA], v[vgprG2LA+6] offset:6336 // lwoA_0_0_6_0 = (0*LSCA)*(MT0I+PAD) + (6*LSPA) = 6336
v_mfma_f32_16x16x16_bf16 a[248+0:251+0], v[vgprValuB_X0_I0+6+0+0:vgprValuB_X0_I0+6+0+0+1], v[vgprValuA_X0_I0+28+0+0:vgprValuA_X0_I0+28+0+0+1], a[248:251]
/*  mfmaIndex:50  */
v_mfma_f32_16x16x16_bf16 a[244+0:247+0], v[vgprValuB_X0_I0+6+0+0:vgprValuB_X0_I0+6+0+0+1], v[vgprValuA_X0_I0+26+0+0:vgprValuA_X0_I0+26+0+0+1], a[244:247]
/*  mfmaIndex:51  */
	;; [unrolled: 2-line block ×4, first 2 shown]
/* sched write - iter 0 writesPerItem=1 */
s_waitcnt vmcnt(0)                                 // lgkmcnt=-1 vmcnt=0wait for global read before writing to local
_ds_store_b32 v[vgprLocalWriteAddrA], v[vgprG2LA+7] offset:7392 // lwoA_0_0_7_0 = (0*LSCA)*(MT0I+PAD) + (7*LSPA) = 7392
v_mfma_f32_16x16x16_bf16 a[232+0:235+0], v[vgprValuB_X0_I0+6+0+0:vgprValuB_X0_I0+6+0+0+1], v[vgprValuA_X0_I0+20+0+0:vgprValuA_X0_I0+20+0+0+1], a[232:235]
/*  mfmaIndex:54  */
v_mfma_f32_16x16x16_bf16 a[228+0:231+0], v[vgprValuB_X0_I0+6+0+0:vgprValuB_X0_I0+6+0+0+1], v[vgprValuA_X0_I0+18+0+0:vgprValuA_X0_I0+18+0+0+1], a[228:231]
/*  mfmaIndex:55  */
	;; [unrolled: 2-line block ×4, first 2 shown]
/* sched write - iter 0 writesPerItem=1 */
s_waitcnt vmcnt(0)                                 // lgkmcnt=-1 vmcnt=0wait for global read before writing to local
_ds_store_b32 v[vgprLocalWriteAddrA], v[vgprG2LA+8] offset:8448 // lwoA_0_0_8_0 = (0*LSCA)*(MT0I+PAD) + (8*LSPA) = 8448
v_mfma_f32_16x16x16_bf16 a[216+0:219+0], v[vgprValuB_X0_I0+6+0+0:vgprValuB_X0_I0+6+0+0+1], v[vgprValuA_X0_I0+12+0+0:vgprValuA_X0_I0+12+0+0+1], a[216:219]
/*  mfmaIndex:58  */
v_mfma_f32_16x16x16_bf16 a[212+0:215+0], v[vgprValuB_X0_I0+6+0+0:vgprValuB_X0_I0+6+0+0+1], v[vgprValuA_X0_I0+10+0+0:vgprValuA_X0_I0+10+0+0+1], a[212:215]
/*  mfmaIndex:59  */
	;; [unrolled: 2-line block ×4, first 2 shown]
/* sched write - iter 0 writesPerItem=1 */
s_waitcnt vmcnt(0)                                 // lgkmcnt=-1 vmcnt=0wait for global read before writing to local
_ds_store_b32 v[vgprLocalWriteAddrA], v[vgprG2LA+9] offset:9504 // lwoA_0_0_9_0 = (0*LSCA)*(MT0I+PAD) + (9*LSPA) = 9504
v_mfma_f32_16x16x16_bf16 a[200+0:203+0], v[vgprValuB_X0_I0+6+0+0:vgprValuB_X0_I0+6+0+0+1], v[vgprValuA_X0_I0+4+0+0:vgprValuA_X0_I0+4+0+0+1], a[200:203]
/*  mfmaIndex:62  */
v_mfma_f32_16x16x16_bf16 a[196+0:199+0], v[vgprValuB_X0_I0+6+0+0:vgprValuB_X0_I0+6+0+0+1], v[vgprValuA_X0_I0+2+0+0:vgprValuA_X0_I0+2+0+0+1], a[196:199]
/*  mfmaIndex:63  */

/* local read swap offsets a */

/* local read swap offsets b */

/* local read init pointers a */

/* localReadInitPointers */

/* local read init pointers b */

/* localReadInitPointers */
v_mfma_f32_16x16x16_bf16 a[192+0:195+0], v[vgprValuB_X0_I0+6+0+0:vgprValuB_X0_I0+6+0+0+1], v[vgprValuA_X0_I0+0+0+0:vgprValuA_X0_I0+0+0+0+1], a[192:195]
/* numPrefetchIter=0 */
/* dataAtIterA=-1 numReadsIterA=1 skipReadsIterA=1 readsPerIterA=16 */
/* dataAtIterB=-1 numReadsIterB=1 skipReadsIterB=1 readsPerIterB=4 */


/* iter 1 (swap and reset local write pointers iteration)  */

/*  grEndMfmaIndex:18, lwStartMfmaIndex:26, lwEndMfmaIndex:101  */
/*  numMfmaForLR:24, barrierMfmaIndex:103, LocalWritePerMfma:0.255 */
/*  mfmaIndex:64  */
v_mfma_f32_16x16x16_bf16 a[0+0:3+0], v[vgprValuB_X1_I0+0+0+0:vgprValuB_X1_I0+0+0+0+1], v[vgprValuA_X1_I0+0+0+0:vgprValuA_X1_I0+0+0+0+1], a[0:3]
/*  mfmaIndex:65  */
/* sched write - iter 1 writesPerItem=1 */
s_waitcnt vmcnt(0)                                 // lgkmcnt=-1 vmcnt=0wait for global read before writing to local
_ds_store_b32 v[vgprLocalWriteAddrA], v[vgprG2LA+10] offset:10560 // lwoA_0_0_10_0 = (0*LSCA)*(MT0I+PAD) + (10*LSPA) = 10560
v_mfma_f32_16x16x16_bf16 a[4+0:7+0], v[vgprValuB_X1_I0+0+0+0:vgprValuB_X1_I0+0+0+0+1], v[vgprValuA_X1_I0+2+0+0:vgprValuA_X1_I0+2+0+0+1], a[4:7]
/*  mfmaIndex:66  */
v_mfma_f32_16x16x16_bf16 a[8+0:11+0], v[vgprValuB_X1_I0+0+0+0:vgprValuB_X1_I0+0+0+0+1], v[vgprValuA_X1_I0+4+0+0:vgprValuA_X1_I0+4+0+0+1], a[8:11]
/*  mfmaIndex:67  */
	;; [unrolled: 2-line block ×4, first 2 shown]
/* sched write - iter 1 writesPerItem=1 */
s_waitcnt vmcnt(0)                                 // lgkmcnt=-1 vmcnt=0wait for global read before writing to local
_ds_store_b32 v[vgprLocalWriteAddrA], v[vgprG2LA+11] offset:11616 // lwoA_0_0_11_0 = (0*LSCA)*(MT0I+PAD) + (11*LSPA) = 11616
v_mfma_f32_16x16x16_bf16 a[20+0:23+0], v[vgprValuB_X1_I0+0+0+0:vgprValuB_X1_I0+0+0+0+1], v[vgprValuA_X1_I0+10+0+0:vgprValuA_X1_I0+10+0+0+1], a[20:23]
/*  mfmaIndex:70  */
v_mfma_f32_16x16x16_bf16 a[24+0:27+0], v[vgprValuB_X1_I0+0+0+0:vgprValuB_X1_I0+0+0+0+1], v[vgprValuA_X1_I0+12+0+0:vgprValuA_X1_I0+12+0+0+1], a[24:27]
/*  mfmaIndex:71  */
	;; [unrolled: 2-line block ×4, first 2 shown]
/* sched write - iter 1 writesPerItem=1 */
s_waitcnt vmcnt(0)                                 // lgkmcnt=-1 vmcnt=0wait for global read before writing to local
_ds_store_b32 v[vgprLocalWriteAddrA], v[vgprG2LA+12] offset:12672 // lwoA_0_0_12_0 = (0*LSCA)*(MT0I+PAD) + (12*LSPA) = 12672
v_mfma_f32_16x16x16_bf16 a[36+0:39+0], v[vgprValuB_X1_I0+0+0+0:vgprValuB_X1_I0+0+0+0+1], v[vgprValuA_X1_I0+18+0+0:vgprValuA_X1_I0+18+0+0+1], a[36:39]
/*  mfmaIndex:74  */
v_mfma_f32_16x16x16_bf16 a[40+0:43+0], v[vgprValuB_X1_I0+0+0+0:vgprValuB_X1_I0+0+0+0+1], v[vgprValuA_X1_I0+20+0+0:vgprValuA_X1_I0+20+0+0+1], a[40:43]
/*  mfmaIndex:75  */
	;; [unrolled: 2-line block ×3, first 2 shown]
/* sched write - iter 1 writesPerItem=1 */
s_waitcnt vmcnt(0)                                 // lgkmcnt=-1 vmcnt=0wait for global read before writing to local
_ds_store_b32 v[vgprLocalWriteAddrA], v[vgprG2LA+13] offset:13728 // lwoA_0_0_13_0 = (0*LSCA)*(MT0I+PAD) + (13*LSPA) = 13728
v_mfma_f32_16x16x16_bf16 a[48+0:51+0], v[vgprValuB_X1_I0+0+0+0:vgprValuB_X1_I0+0+0+0+1], v[vgprValuA_X1_I0+24+0+0:vgprValuA_X1_I0+24+0+0+1], a[48:51]
/*  mfmaIndex:77  */
v_mfma_f32_16x16x16_bf16 a[52+0:55+0], v[vgprValuB_X1_I0+0+0+0:vgprValuB_X1_I0+0+0+0+1], v[vgprValuA_X1_I0+26+0+0:vgprValuA_X1_I0+26+0+0+1], a[52:55]
/*  mfmaIndex:78  */
	;; [unrolled: 2-line block ×4, first 2 shown]
/* sched write - iter 1 writesPerItem=1 */
s_waitcnt vmcnt(0)                                 // lgkmcnt=-1 vmcnt=0wait for global read before writing to local
_ds_store_b32 v[vgprLocalWriteAddrA], v[vgprG2LA+14] offset:14784 // lwoA_0_0_14_0 = (0*LSCA)*(MT0I+PAD) + (14*LSPA) = 14784
v_mfma_f32_16x16x16_bf16 a[124+0:127+0], v[vgprValuB_X1_I0+2+0+0:vgprValuB_X1_I0+2+0+0+1], v[vgprValuA_X1_I0+30+0+0:vgprValuA_X1_I0+30+0+0+1], a[124:127]
/*  mfmaIndex:81  */
v_mfma_f32_16x16x16_bf16 a[120+0:123+0], v[vgprValuB_X1_I0+2+0+0:vgprValuB_X1_I0+2+0+0+1], v[vgprValuA_X1_I0+28+0+0:vgprValuA_X1_I0+28+0+0+1], a[120:123]
/*  mfmaIndex:82  */
	;; [unrolled: 2-line block ×4, first 2 shown]
/* sched write - iter 1 writesPerItem=1 */
s_waitcnt vmcnt(0)                                 // lgkmcnt=-1 vmcnt=0wait for global read before writing to local
_ds_store_b32 v[vgprLocalWriteAddrA], v[vgprG2LA+15] offset:15840 // lwoA_0_0_15_0 = (0*LSCA)*(MT0I+PAD) + (15*LSPA) = 15840
v_mfma_f32_16x16x16_bf16 a[108+0:111+0], v[vgprValuB_X1_I0+2+0+0:vgprValuB_X1_I0+2+0+0+1], v[vgprValuA_X1_I0+22+0+0:vgprValuA_X1_I0+22+0+0+1], a[108:111]
/*  mfmaIndex:85  */
v_mfma_f32_16x16x16_bf16 a[104+0:107+0], v[vgprValuB_X1_I0+2+0+0:vgprValuB_X1_I0+2+0+0+1], v[vgprValuA_X1_I0+20+0+0:vgprValuA_X1_I0+20+0+0+1], a[104:107]
/*  mfmaIndex:86  */
	;; [unrolled: 2-line block ×4, first 2 shown]
/* sched write - iter 1 writesPerItem=1 */
s_waitcnt vmcnt(0)                                 // lgkmcnt=-1 vmcnt=0wait for global read before writing to local
_ds_store_b128 v[vgprLocalWriteAddrB], v[vgprG2LB+0:vgprG2LB+0+3] offset:0 // lwoB_0_0_0_0 = (0*LSCB)*(MT1J+PAD) + (0*LSPB) = 0
v_mfma_f32_16x16x16_bf16 a[92+0:95+0], v[vgprValuB_X1_I0+2+0+0:vgprValuB_X1_I0+2+0+0+1], v[vgprValuA_X1_I0+14+0+0:vgprValuA_X1_I0+14+0+0+1], a[92:95]
/*  mfmaIndex:89  */
v_mfma_f32_16x16x16_bf16 a[88+0:91+0], v[vgprValuB_X1_I0+2+0+0:vgprValuB_X1_I0+2+0+0+1], v[vgprValuA_X1_I0+12+0+0:vgprValuA_X1_I0+12+0+0+1], a[88:91]
/*  mfmaIndex:90  */
v_mfma_f32_16x16x16_bf16 a[84+0:87+0], v[vgprValuB_X1_I0+2+0+0:vgprValuB_X1_I0+2+0+0+1], v[vgprValuA_X1_I0+10+0+0:vgprValuA_X1_I0+10+0+0+1], a[84:87]
/*  mfmaIndex:91  */
v_mfma_f32_16x16x16_bf16 a[80+0:83+0], v[vgprValuB_X1_I0+2+0+0:vgprValuB_X1_I0+2+0+0+1], v[vgprValuA_X1_I0+8+0+0:vgprValuA_X1_I0+8+0+0+1], a[80:83]
/*  mfmaIndex:92  */
/* sched write - iter 1 writesPerItem=1 */
s_waitcnt vmcnt(0)                                 // lgkmcnt=-1 vmcnt=0wait for global read before writing to local
_ds_store_b128 v[vgprLocalWriteAddrB], v[vgprG2LB+4:vgprG2LB+4+3] offset:4608 // lwoB_0_0_1_0 = (0*LSCB)*(MT1J+PAD) + (1*LSPB) = 4608
v_mfma_f32_16x16x16_bf16 a[76+0:79+0], v[vgprValuB_X1_I0+2+0+0:vgprValuB_X1_I0+2+0+0+1], v[vgprValuA_X1_I0+6+0+0:vgprValuA_X1_I0+6+0+0+1], a[76:79]
/*  mfmaIndex:93  */
v_mfma_f32_16x16x16_bf16 a[72+0:75+0], v[vgprValuB_X1_I0+2+0+0:vgprValuB_X1_I0+2+0+0+1], v[vgprValuA_X1_I0+4+0+0:vgprValuA_X1_I0+4+0+0+1], a[72:75]
/*  mfmaIndex:94  */
	;; [unrolled: 2-line block ×4, first 2 shown]
/* sched write - iter 1 writesPerItem=1 */
s_waitcnt vmcnt(0)                                 // lgkmcnt=-1 vmcnt=0wait for global read before writing to local
_ds_store_b128 v[vgprLocalWriteAddrB], v[vgprG2LB+8:vgprG2LB+8+3] offset:9216 // lwoB_0_0_2_0 = (0*LSCB)*(MT1J+PAD) + (2*LSPB) = 9216
v_mfma_f32_16x16x16_bf16 a[128+0:131+0], v[vgprValuB_X1_I0+4+0+0:vgprValuB_X1_I0+4+0+0+1], v[vgprValuA_X1_I0+0+0+0:vgprValuA_X1_I0+0+0+0+1], a[128:131]
/*  mfmaIndex:97  */
v_mfma_f32_16x16x16_bf16 a[132+0:135+0], v[vgprValuB_X1_I0+4+0+0:vgprValuB_X1_I0+4+0+0+1], v[vgprValuA_X1_I0+2+0+0:vgprValuA_X1_I0+2+0+0+1], a[132:135]
/*  mfmaIndex:98  */
	;; [unrolled: 2-line block ×4, first 2 shown]
/* sched write - iter 1 writesPerItem=1 */
s_waitcnt vmcnt(0)                                 // lgkmcnt=-1 vmcnt=0wait for global read before writing to local
_ds_store_b128 v[vgprLocalWriteAddrB], v[vgprG2LB+12:vgprG2LB+12+3] offset:13824 // lwoB_0_0_3_0 = (0*LSCB)*(MT1J+PAD) + (3*LSPB) = 13824
v_mfma_f32_16x16x16_bf16 a[144+0:147+0], v[vgprValuB_X1_I0+4+0+0:vgprValuB_X1_I0+4+0+0+1], v[vgprValuA_X1_I0+8+0+0:vgprValuA_X1_I0+8+0+0+1], a[144:147]
/*  mfmaIndex:101  */

/* local write swap offsets a */

/* local write swap offsets b */
v_mfma_f32_16x16x16_bf16 a[148+0:151+0], v[vgprValuB_X1_I0+4+0+0:vgprValuB_X1_I0+4+0+0+1], v[vgprValuA_X1_I0+10+0+0:vgprValuA_X1_I0+10+0+0+1], a[148:151]
/*  mfmaIndex:102  */
v_mfma_f32_16x16x16_bf16 a[152+0:155+0], v[vgprValuB_X1_I0+4+0+0:vgprValuB_X1_I0+4+0+0+1], v[vgprValuA_X1_I0+12+0+0:vgprValuA_X1_I0+12+0+0+1], a[152:155]
s_setprio 0                                        // store optimization
/*  mfmaIndex:103  */
s_waitcnt lgkmcnt(0)                               // lgkmcnt=0 vmcnt=-13wait for local write
// Skip force waitcnt0
s_barrier //
v_mfma_f32_16x16x16_bf16 a[156+0:159+0], v[vgprValuB_X1_I0+4+0+0:vgprValuB_X1_I0+4+0+0+1], v[vgprValuA_X1_I0+14+0+0:vgprValuA_X1_I0+14+0+0+1], a[156:159]
/*  mfmaIndex:104  */
s_setprio 3                                        // store optimization
_ds_load_b64 v[vgprValuA_X0_I0+0:vgprValuA_X0_I0+0+1], v[vgprLocalReadAddrA] offset:0 // L -> Reg lro=0 swapByteOffset=0 ti=64 vIdx=0 rIdx=0 oIdx=0 buffer=0 iui=0
v_mfma_f32_16x16x16_bf16 a[160+0:163+0], v[vgprValuB_X1_I0+4+0+0:vgprValuB_X1_I0+4+0+0+1], v[vgprValuA_X1_I0+16+0+0:vgprValuA_X1_I0+16+0+0+1], a[160:163]
/*  mfmaIndex:105  */
_ds_load_b64 v[vgprValuB_X0_I0+0:vgprValuB_X0_I0+0+1], v[vgprLocalReadAddrB] offset:0 // L -> Reg lro=0 swapByteOffset=0 ti=64 vIdx=0 rIdx=0 oIdx=0 buffer=0 iui=0
v_mfma_f32_16x16x16_bf16 a[164+0:167+0], v[vgprValuB_X1_I0+4+0+0:vgprValuB_X1_I0+4+0+0+1], v[vgprValuA_X1_I0+18+0+0:vgprValuA_X1_I0+18+0+0+1], a[164:167]
/*  mfmaIndex:106  */
_ds_load_b64 v[vgprValuA_X0_I0+2:vgprValuA_X0_I0+2+1], v[vgprLocalReadAddrA] offset:64 // L -> Reg lro=0 swapByteOffset=0 ti=64 vIdx=0 rIdx=0 oIdx=0 buffer=0 iui=0
v_mfma_f32_16x16x16_bf16 a[168+0:171+0], v[vgprValuB_X1_I0+4+0+0:vgprValuB_X1_I0+4+0+0+1], v[vgprValuA_X1_I0+20+0+0:vgprValuA_X1_I0+20+0+0+1], a[168:171]
/*  mfmaIndex:107  */
_ds_load_b64 v[vgprValuA_X0_I0+4:vgprValuA_X0_I0+4+1], v[vgprLocalReadAddrA] offset:128 // L -> Reg lro=0 swapByteOffset=0 ti=64 vIdx=0 rIdx=0 oIdx=0 buffer=0 iui=0
	;; [unrolled: 3-line block ×15, first 2 shown]
v_mfma_f32_16x16x16_bf16 a[220+0:223+0], v[vgprValuB_X1_I0+6+0+0:vgprValuB_X1_I0+6+0+0+1], v[vgprValuA_X1_I0+14+0+0:vgprValuA_X1_I0+14+0+0+1], a[220:223]
/*  mfmaIndex:121  */
_ds_load_b64 v[vgprValuB_X0_I0+2:vgprValuB_X0_I0+2+1], v[vgprLocalReadAddrB] offset:4608 // L -> Reg lro=0 swapByteOffset=0 ti=64 vIdx=1 rIdx=0 oIdx=0 buffer=0 iui=0
v_mfma_f32_16x16x16_bf16 a[216+0:219+0], v[vgprValuB_X1_I0+6+0+0:vgprValuB_X1_I0+6+0+0+1], v[vgprValuA_X1_I0+12+0+0:vgprValuA_X1_I0+12+0+0+1], a[216:219]
/*  mfmaIndex:122  */
_ds_load_b64 v[vgprValuB_X0_I0+4:vgprValuB_X0_I0+4+1], v[vgprLocalReadAddrB] offset:9216 // L -> Reg lro=0 swapByteOffset=0 ti=64 vIdx=2 rIdx=0 oIdx=0 buffer=0 iui=0
	;; [unrolled: 3-line block ×3, first 2 shown]
v_mfma_f32_16x16x16_bf16 a[208+0:211+0], v[vgprValuB_X1_I0+6+0+0:vgprValuB_X1_I0+6+0+0+1], v[vgprValuA_X1_I0+8+0+0:vgprValuA_X1_I0+8+0+0+1], a[208:211]
/*  mfmaIndex:124  */
v_mfma_f32_16x16x16_bf16 a[204+0:207+0], v[vgprValuB_X1_I0+6+0+0:vgprValuB_X1_I0+6+0+0+1], v[vgprValuA_X1_I0+6+0+0:vgprValuA_X1_I0+6+0+0+1], a[204:207]
/*  mfmaIndex:125  */
v_mfma_f32_16x16x16_bf16 a[200+0:203+0], v[vgprValuB_X1_I0+6+0+0:vgprValuB_X1_I0+6+0+0+1], v[vgprValuA_X1_I0+4+0+0:vgprValuA_X1_I0+4+0+0+1], a[200:203]
/*  mfmaIndex:126  */
v_mfma_f32_16x16x16_bf16 a[196+0:199+0], v[vgprValuB_X1_I0+6+0+0:vgprValuB_X1_I0+6+0+0+1], v[vgprValuA_X1_I0+2+0+0:vgprValuA_X1_I0+2+0+0+1], a[196:199]
/*  mfmaIndex:127  */
v_mfma_f32_16x16x16_bf16 a[192+0:195+0], v[vgprValuB_X1_I0+6+0+0:vgprValuB_X1_I0+6+0+0+1], v[vgprValuA_X1_I0+0+0+0:vgprValuA_X1_I0+0+0+0+1], a[192:195]
s_setprio 0                                        // store optimization

label_0014:


/******************************************/
/* Opt. NoLoadLoop Without PAP - Begin                                      */
/******************************************/

s_cmpk_eq_u32 s[sgprBeta], 0x0                     // Beta == 0
s_cbranch_scc0 OptNLL_End_17                       // Branch if Beta is not zero

s_cmp_eq_u32 s[sgprAlpha], 1.0                     // Alpha == 1.0 ?
s_cbranch_scc0 OptNLL_End_17                       // branch if alpha != 1

s_and_b32 s76, 255, s[sgprSizeI]                   // s76 = s[sgprSizeI] % 256
s_add_u32 s77, -0x1, s[sgprNumWorkGroups0]         // 
s_cmp_ge_u32 s[sgprWorkGroup0], s77                // wg0 >= nwg0-1 ?
s_cselect_b32 s76, s76, 0                          // set rMT0
s_cmpk_gt_u32 s76, 0x0                             // rMT0 > 0
s_cbranch_scc1 OptNLL_End_17                       // jump if edges required
s_and_b32 s76, 255, s[sgprSizeJ]                   // s76 = s[sgprSizeJ] % 256
s_add_u32 s77, -0x1, s[sgprNumWorkGroups1]         // 
s_cmp_ge_u32 s[sgprWorkGroup1], s77                // wg1 >= nwg1-1
s_cselect_b32 s76, s76, 0                          // set rMT1
s_cmpk_gt_u32 s76, 0x0                             // rMT1 > 0
s_cbranch_scc1 OptNLL_End_17                       // jump if edges required

s_and_b32 s77, 31, s[sgprSizesSum+0]               // s77 = s[sgprSizesSum+0] % 32
s_cmp_eq_u32 s77, 0x0                              // numIterL == 0
s_cbranch_scc0 OptNLL_End_17                       // skip if tail loop required


	;; [unrolled: 1-line block ×3, first 2 shown]
/* iter 0 (last unrolled loop) */

/*  grEndMfmaIndex:0, lwStartMfmaIndex:101, lwEndMfmaIndex:101  */
/*  numMfmaForLR:24, barrierMfmaIndex:103, LocalWritePerMfma:0.255 */
/*  mfmaIndex:0  */
s_waitcnt lgkmcnt(0)                               // lgkmcnt=0 vmcnt=-1wait for prior local read local write old=0, new=0 newLW=0 newLR=0
v_mfma_f32_16x16x16_bf16 a[0+0:3+0], v[vgprValuB_X0_I0+0+0+0:vgprValuB_X0_I0+0+0+0+1], v[vgprValuA_X0_I0+0+0+0:vgprValuA_X0_I0+0+0+0+1], a[0:3]
/*  mfmaIndex:1  */
_ds_load_b64 v[vgprValuA_X1_I0+0:vgprValuA_X1_I0+0+1], v[vgprLocalReadAddrA] offset:32 // L -> Reg lro=16 swapByteOffset=0 ti=64 vIdx=0 rIdx=0 oIdx=0 buffer=1 iui=0
v_mfma_f32_16x16x16_bf16 a[4+0:7+0], v[vgprValuB_X0_I0+0+0+0:vgprValuB_X0_I0+0+0+0+1], v[vgprValuA_X0_I0+2+0+0:vgprValuA_X0_I0+2+0+0+1], a[4:7]
/*  mfmaIndex:2  */
_ds_load_b64 v[vgprValuB_X1_I0+0:vgprValuB_X1_I0+0+1], v[vgprLocalReadAddrB] offset:32 // L -> Reg lro=16 swapByteOffset=0 ti=64 vIdx=0 rIdx=0 oIdx=0 buffer=1 iui=0
v_mfma_f32_16x16x16_bf16 a[8+0:11+0], v[vgprValuB_X0_I0+0+0+0:vgprValuB_X0_I0+0+0+0+1], v[vgprValuA_X0_I0+4+0+0:vgprValuA_X0_I0+4+0+0+1], a[8:11]
/*  mfmaIndex:3  */
_ds_load_b64 v[vgprValuA_X1_I0+2:vgprValuA_X1_I0+2+1], v[vgprLocalReadAddrA] offset:96 // L -> Reg lro=16 swapByteOffset=0 ti=64 vIdx=0 rIdx=0 oIdx=0 buffer=1 iui=0
v_mfma_f32_16x16x16_bf16 a[12+0:15+0], v[vgprValuB_X0_I0+0+0+0:vgprValuB_X0_I0+0+0+0+1], v[vgprValuA_X0_I0+6+0+0:vgprValuA_X0_I0+6+0+0+1], a[12:15]
/*  mfmaIndex:4  */
_ds_load_b64 v[vgprValuA_X1_I0+4:vgprValuA_X1_I0+4+1], v[vgprLocalReadAddrA] offset:160 // L -> Reg lro=16 swapByteOffset=0 ti=64 vIdx=0 rIdx=0 oIdx=0 buffer=1 iui=0
	;; [unrolled: 3-line block ×15, first 2 shown]
v_mfma_f32_16x16x16_bf16 a[120+0:123+0], v[vgprValuB_X0_I0+2+0+0:vgprValuB_X0_I0+2+0+0+1], v[vgprValuA_X0_I0+28+0+0:vgprValuA_X0_I0+28+0+0+1], a[120:123]
/*  mfmaIndex:18  */
_ds_load_b64 v[vgprValuB_X1_I0+2:vgprValuB_X1_I0+2+1], v[vgprLocalReadAddrB] offset:4640 // L -> Reg lro=16 swapByteOffset=0 ti=64 vIdx=1 rIdx=0 oIdx=0 buffer=1 iui=0
v_mfma_f32_16x16x16_bf16 a[116+0:119+0], v[vgprValuB_X0_I0+2+0+0:vgprValuB_X0_I0+2+0+0+1], v[vgprValuA_X0_I0+26+0+0:vgprValuA_X0_I0+26+0+0+1], a[116:119]
/*  mfmaIndex:19  */
_ds_load_b64 v[vgprValuB_X1_I0+4:vgprValuB_X1_I0+4+1], v[vgprLocalReadAddrB] offset:9248 // L -> Reg lro=16 swapByteOffset=0 ti=64 vIdx=2 rIdx=0 oIdx=0 buffer=1 iui=0
	;; [unrolled: 3-line block ×3, first 2 shown]
v_mfma_f32_16x16x16_bf16 a[108+0:111+0], v[vgprValuB_X0_I0+2+0+0:vgprValuB_X0_I0+2+0+0+1], v[vgprValuA_X0_I0+22+0+0:vgprValuA_X0_I0+22+0+0+1], a[108:111]
/*  mfmaIndex:21  */
/* localReadsVacancy: latencyLeft 2 */
v_mfma_f32_16x16x16_bf16 a[104+0:107+0], v[vgprValuB_X0_I0+2+0+0:vgprValuB_X0_I0+2+0+0+1], v[vgprValuA_X0_I0+20+0+0:vgprValuA_X0_I0+20+0+0+1], a[104:107]
/*  mfmaIndex:22  */
/* localReadsVacancy: latencyLeft 2 */
	;; [unrolled: 3-line block ×43, first 2 shown]
v_mfma_f32_16x16x16_bf16 a[192+0:195+0], v[vgprValuB_X0_I0+6+0+0:vgprValuB_X0_I0+6+0+0+1], v[vgprValuA_X0_I0+0+0+0:vgprValuA_X0_I0+0+0+0+1], a[192:195]
/* numPrefetchIter=0 */
/* dataAtIterA=-1 numReadsIterA=1 skipReadsIterA=1 readsPerIterA=16 */
/* dataAtIterB=-1 numReadsIterB=1 skipReadsIterB=1 readsPerIterB=4 */


/* iter 1 (last unrolled loop) */

/*  grEndMfmaIndex:0, lwStartMfmaIndex:101, lwEndMfmaIndex:101  */
/*  numMfmaForLR:24, barrierMfmaIndex:103, LocalWritePerMfma:0.255 */
/*  mfmaIndex:64  */
s_waitcnt lgkmcnt(0)                               // lgkmcnt=0 vmcnt=-1wait for prior local read local write old=0, new=0 newLW=0 newLR=0
v_mfma_f32_16x16x16_bf16 a[0+0:3+0], v[vgprValuB_X1_I0+0+0+0:vgprValuB_X1_I0+0+0+0+1], v[vgprValuA_X1_I0+0+0+0:vgprValuA_X1_I0+0+0+0+1], a[0:3]
/*  mfmaIndex:65  */
v_mfma_f32_16x16x16_bf16 a[4+0:7+0], v[vgprValuB_X1_I0+0+0+0:vgprValuB_X1_I0+0+0+0+1], v[vgprValuA_X1_I0+2+0+0:vgprValuA_X1_I0+2+0+0+1], a[4:7]
/*  mfmaIndex:66  */
	;; [unrolled: 2-line block ×36, first 2 shown]
/* 1 LDS buffer: read-sync-write */
s_waitcnt lgkmcnt(0)                               // 
s_barrier                                          // 
v_mfma_f32_16x16x16_bf16 a[144+0:147+0], v[vgprValuB_X1_I0+4+0+0:vgprValuB_X1_I0+4+0+0+1], v[vgprValuA_X1_I0+8+0+0:vgprValuA_X1_I0+8+0+0+1], a[144:147]
/*  mfmaIndex:101  */
s_setprio 3                                        // store optimization
v_mfma_f32_16x16x16_bf16 a[148+0:151+0], v[vgprValuB_X1_I0+4+0+0:vgprValuB_X1_I0+4+0+0+1], v[vgprValuA_X1_I0+10+0+0:vgprValuA_X1_I0+10+0+0+1], a[148:151]
/*  mfmaIndex:102  */
v_mfma_f32_16x16x16_bf16 a[152+0:155+0], v[vgprValuB_X1_I0+4+0+0:vgprValuB_X1_I0+4+0+0+1], v[vgprValuA_X1_I0+12+0+0:vgprValuA_X1_I0+12+0+0+1], a[152:155]
s_setprio 0                                        // store optimization
/*  mfmaIndex:103  */
v_mfma_f32_16x16x16_bf16 a[156+0:159+0], v[vgprValuB_X1_I0+4+0+0:vgprValuB_X1_I0+4+0+0+1], v[vgprValuA_X1_I0+14+0+0:vgprValuA_X1_I0+14+0+0+1], a[156:159]
/*  mfmaIndex:104  */
s_setprio 3                                        // store optimization
v_mfma_f32_16x16x16_bf16 a[160+0:163+0], v[vgprValuB_X1_I0+4+0+0:vgprValuB_X1_I0+4+0+0+1], v[vgprValuA_X1_I0+16+0+0:vgprValuA_X1_I0+16+0+0+1], a[160:163]
/*  mfmaIndex:105  */
v_mfma_f32_16x16x16_bf16 a[164+0:167+0], v[vgprValuB_X1_I0+4+0+0:vgprValuB_X1_I0+4+0+0+1], v[vgprValuA_X1_I0+18+0+0:vgprValuA_X1_I0+18+0+0+1], a[164:167]
/*  mfmaIndex:106  */
	;; [unrolled: 2-line block ×23, first 2 shown]
v_mfma_f32_16x16x16_bf16 a[192+0:195+0], v[vgprValuB_X1_I0+6+0+0:vgprValuB_X1_I0+6+0+0+1], v[vgprValuA_X1_I0+0+0+0:vgprValuA_X1_I0+0+0+0+1], a[192:195]
/* numPrefetchIter=0 */
/* dataAtIterA=0 numReadsIterA=1 skipReadsIterA=0 readsPerIterA=16 */
/* dataAtIterB=0 numReadsIterB=1 skipReadsIterB=0 readsPerIterB=4 */

/* Stores for OptNLL */
Summation_End_OptNLL_18:
s_setprio 0                                        // optimization store
/* endSummation: add vgpr [0...116) to pool */
.set NumFullBlocks, UNDEF
.set WgmRemainder1, UNDEF
.set MagicNumberWgmRemainder1, UNDEF
.set ScalarGlobalReadOffsetA, UNDEF
.set ScalarGlobalReadOffsetB, UNDEF

/* Mapping of Acc register -> C Vgpr register */
/* computeStoreVgprs */
v_lshrrev_b32 v4, 6, v[vgprSerial]                 // v4 = v[vgprSerial] / 64
v_and_b32 v1, 63, v[vgprSerial]                    // v1 = v[vgprSerial] % 64
v_lshrrev_b32 v1, 4, v1                            // v1 = v1 / 16
v_lshlrev_b32 v1, 0x2, v1                          // thread0 * continuous_output
v_lshrrev_b32 v5, 0, v4                            // v5 = v4 / 1
v_mul_lo_u32 v5, 0x10, v5                          // wave coordination offset 1
_v_add_lshl_u32 v1, v5, v1, 0                      // coordination 1 = vwb *(wave_id1 + tid1)
v_mul_lo_u32 v2, v1, s[sgprStrideC1J]              //  offset 1
v_mul_lo_u32 v3, v1, s[sgprStrideD1J]              //  offset 1
v_and_b32 v5, 0, v4                                // v5 = v4 % 1
v_and_b32 v0, 15, v[vgprSerial]                    // v0 = v[vgprSerial] % 16
_v_add_lshl_u32 v0, v5, v0, 2                      // coordination 0 = vwa *(wave_id0 + tid0)
s_mul_i32 s53, 256, s[sgprWorkGroup0]              // wgp0 * MT0
_v_add_u32 v0, s53, v0                             // coord 0 = (tid0/MI_m)*4 + waveG0*MIB_m + MT0*SG0
s_mul_i32 s53, 256, s[sgprWorkGroup1]              // wgp1 * MT1
_v_add_u32 v1, s53, v1                             // coord 1 = (tid0%MI_m) + waveG1*MIB_n + MT1*SG1
GW_B0_E0_21:

/* edge=0, allocate 2 sgpr. perBatchTmpS=2 perBatchMaskS=0 perElementMaskS=0 elementsPerBatch=60 */
/* optSingleColVgpr=1 optSharedColVgpr=0 optSGPRUsage=BufferLoad_Mask optSrdIncForRow=1 */
s_sleep 5 // optimization: sync and wait
s_barrier

/******************************************/
/* Global Write Batch #0 (d1,d0,vc1,vc0) = */
/*    (0,0,0,0:vw4); (0,1,0,0:vw4); (0,2,0,0:vw4); (0,3,0,0:vw4); (0,0,1,0:vw4); (0,1,1,0:vw4); (0,2,1,0:vw4); (0,3,1,0:vw4); (0,0,2,0:vw4); (0,1,2,0:vw4); (0,2,2,0:vw4); (0,3,2,0:vw4); (0,0,3,0:vw4); (0,1,3,0:vw4); (0,2,3,0:vw4); (0,3,3,0:vw4); (1,0,0,0:vw4); (1,1,0,0:vw4); (1,2,0,0:vw4); (1,3,0,0:vw4); (1,0,1,0:vw4); (1,1,1,0:vw4); (1,2,1,0:vw4); (1,3,1,0:vw4); (1,0,2,0:vw4); (1,1,2,0:vw4); (1,2,2,0:vw4); (1,3,2,0:vw4); (1,0,3,0:vw4); (1,1,3,0:vw4); (1,2,3,0:vw4); (1,3,3,0:vw4); (2,0,0,0:vw4); (2,1,0,0:vw4); (2,2,0,0:vw4); (2,3,0,0:vw4); (2,0,1,0:vw4); (2,1,1,0:vw4); (2,2,1,0:vw4); (2,3,1,0:vw4); (2,0,2,0:vw4); (2,1,2,0:vw4); (2,2,2,0:vw4); (2,3,2,0:vw4); (2,0,3,0:vw4); (2,1,3,0:vw4); (2,2,3,0:vw4); (2,3,3,0:vw4); (3,0,0,0:vw4); (3,1,0,0:vw4); (3,2,0,0:vw4); (3,3,0,0:vw4); (3,0,1,0:vw4); (3,1,1,0:vw4); (3,2,1,0:vw4); (3,3,1,0:vw4); (3,0,2,0:vw4); (3,1,2,0:vw4); (3,2,2,0:vw4); (3,3,2,0:vw4) */
/******************************************/

/* calc coords, apply mask, and issue loads (if necessary) */
/* (d1,vc1,d0,vc0)=(0,0,0,0) */
/* (d1,vc1,d0,vc0)=(0,0,1,0) */
	;; [unrolled: 1-line block ×60, first 2 shown]
_v_add_lshl_u32 v10, v3, v0, 0x1                   // optSingleColVgpr scaleToBpe: sharedAddrVgpr <- cinRowPtr + coord0, scaled by BPE. BSHERE:coord0=0, coord0Vgpr=0
v_accvgpr_read_b32 v[vgprValuC+12], acc0 // copy acc to vreg[0]
v_accvgpr_read_b32 v[vgprValuC+13], acc4 // copy acc to vreg[1]
v_accvgpr_read_b32 v[vgprValuC+14], acc8 // copy acc to vreg[2]
v_accvgpr_read_b32 v[vgprValuC+15], acc12 // copy acc to vreg[3]
v_accvgpr_read_b32 v[vgprValuC+16], acc16 // copy acc to vreg[4]
v_accvgpr_read_b32 v[vgprValuC+17], acc20 // copy acc to vreg[5]
v_accvgpr_read_b32 v[vgprValuC+18], acc24 // copy acc to vreg[6]
v_accvgpr_read_b32 v[vgprValuC+19], acc28 // copy acc to vreg[7]
v_accvgpr_read_b32 v[vgprValuC+20], acc32 // copy acc to vreg[8]
v_accvgpr_read_b32 v[vgprValuC+21], acc36 // copy acc to vreg[9]
v_accvgpr_read_b32 v[vgprValuC+22], acc40 // copy acc to vreg[10]
v_accvgpr_read_b32 v[vgprValuC+23], acc44 // copy acc to vreg[11]
v_accvgpr_read_b32 v[vgprValuC+24], acc48 // copy acc to vreg[12]
v_accvgpr_read_b32 v[vgprValuC+25], acc52 // copy acc to vreg[13]
v_accvgpr_read_b32 v[vgprValuC+26], acc56 // copy acc to vreg[14]
v_accvgpr_read_b32 v[vgprValuC+27], acc60 // copy acc to vreg[15]
v_accvgpr_read_b32 v[vgprValuC+28], acc1 // copy acc to vreg[16]
v_accvgpr_read_b32 v[vgprValuC+29], acc5 // copy acc to vreg[17]
v_accvgpr_read_b32 v[vgprValuC+30], acc9 // copy acc to vreg[18]
v_accvgpr_read_b32 v[vgprValuC+31], acc13 // copy acc to vreg[19]
v_accvgpr_read_b32 v[vgprValuC+32], acc17 // copy acc to vreg[20]
v_accvgpr_read_b32 v[vgprValuC+33], acc21 // copy acc to vreg[21]
v_accvgpr_read_b32 v[vgprValuC+34], acc25 // copy acc to vreg[22]
v_accvgpr_read_b32 v[vgprValuC+35], acc29 // copy acc to vreg[23]
v_accvgpr_read_b32 v[vgprValuC+36], acc33 // copy acc to vreg[24]
v_accvgpr_read_b32 v[vgprValuC+37], acc37 // copy acc to vreg[25]
v_accvgpr_read_b32 v[vgprValuC+38], acc41 // copy acc to vreg[26]
v_accvgpr_read_b32 v[vgprValuC+39], acc45 // copy acc to vreg[27]
v_accvgpr_read_b32 v[vgprValuC+40], acc49 // copy acc to vreg[28]
v_accvgpr_read_b32 v[vgprValuC+41], acc53 // copy acc to vreg[29]
v_accvgpr_read_b32 v[vgprValuC+42], acc57 // copy acc to vreg[30]
v_accvgpr_read_b32 v[vgprValuC+43], acc61 // copy acc to vreg[31]
v_accvgpr_read_b32 v[vgprValuC+44], acc2 // copy acc to vreg[32]
v_accvgpr_read_b32 v[vgprValuC+45], acc6 // copy acc to vreg[33]
v_accvgpr_read_b32 v[vgprValuC+46], acc10 // copy acc to vreg[34]
v_accvgpr_read_b32 v[vgprValuC+47], acc14 // copy acc to vreg[35]
v_accvgpr_read_b32 v[vgprValuC+48], acc18 // copy acc to vreg[36]
v_accvgpr_read_b32 v[vgprValuC+49], acc22 // copy acc to vreg[37]
v_accvgpr_read_b32 v[vgprValuC+50], acc26 // copy acc to vreg[38]
v_accvgpr_read_b32 v[vgprValuC+51], acc30 // copy acc to vreg[39]
v_accvgpr_read_b32 v[vgprValuC+52], acc34 // copy acc to vreg[40]
v_accvgpr_read_b32 v[vgprValuC+53], acc38 // copy acc to vreg[41]
v_accvgpr_read_b32 v[vgprValuC+54], acc42 // copy acc to vreg[42]
v_accvgpr_read_b32 v[vgprValuC+55], acc46 // copy acc to vreg[43]
v_accvgpr_read_b32 v[vgprValuC+56], acc50 // copy acc to vreg[44]
v_accvgpr_read_b32 v[vgprValuC+57], acc54 // copy acc to vreg[45]
v_accvgpr_read_b32 v[vgprValuC+58], acc58 // copy acc to vreg[46]
v_accvgpr_read_b32 v[vgprValuC+59], acc62 // copy acc to vreg[47]
v_accvgpr_read_b32 v[vgprValuC+60], acc3 // copy acc to vreg[48]
v_accvgpr_read_b32 v[vgprValuC+61], acc7 // copy acc to vreg[49]
v_accvgpr_read_b32 v[vgprValuC+62], acc11 // copy acc to vreg[50]
v_accvgpr_read_b32 v[vgprValuC+63], acc15 // copy acc to vreg[51]
v_accvgpr_read_b32 v[vgprValuC+64], acc19 // copy acc to vreg[52]
v_accvgpr_read_b32 v[vgprValuC+65], acc23 // copy acc to vreg[53]
v_accvgpr_read_b32 v[vgprValuC+66], acc27 // copy acc to vreg[54]
v_accvgpr_read_b32 v[vgprValuC+67], acc31 // copy acc to vreg[55]
v_accvgpr_read_b32 v[vgprValuC+68], acc35 // copy acc to vreg[56]
v_accvgpr_read_b32 v[vgprValuC+69], acc39 // copy acc to vreg[57]
v_accvgpr_read_b32 v[vgprValuC+70], acc43 // copy acc to vreg[58]
v_accvgpr_read_b32 v[vgprValuC+71], acc47 // copy acc to vreg[59]
v_accvgpr_read_b32 v[vgprValuC+72], acc51 // copy acc to vreg[60]
v_accvgpr_read_b32 v[vgprValuC+73], acc55 // copy acc to vreg[61]
v_accvgpr_read_b32 v[vgprValuC+74], acc59 // copy acc to vreg[62]
v_accvgpr_read_b32 v[vgprValuC+75], acc63 // copy acc to vreg[63]
v_accvgpr_read_b32 v[vgprValuC+76], acc64 // copy acc to vreg[64]
v_accvgpr_read_b32 v[vgprValuC+77], acc68 // copy acc to vreg[65]
v_accvgpr_read_b32 v[vgprValuC+78], acc72 // copy acc to vreg[66]
v_accvgpr_read_b32 v[vgprValuC+79], acc76 // copy acc to vreg[67]
v_accvgpr_read_b32 v[vgprValuC+80], acc80 // copy acc to vreg[68]
v_accvgpr_read_b32 v[vgprValuC+81], acc84 // copy acc to vreg[69]
v_accvgpr_read_b32 v[vgprValuC+82], acc88 // copy acc to vreg[70]
v_accvgpr_read_b32 v[vgprValuC+83], acc92 // copy acc to vreg[71]
v_accvgpr_read_b32 v[vgprValuC+84], acc96 // copy acc to vreg[72]
v_accvgpr_read_b32 v[vgprValuC+85], acc100 // copy acc to vreg[73]
v_accvgpr_read_b32 v[vgprValuC+86], acc104 // copy acc to vreg[74]
v_accvgpr_read_b32 v[vgprValuC+87], acc108 // copy acc to vreg[75]
v_accvgpr_read_b32 v[vgprValuC+88], acc112 // copy acc to vreg[76]
v_accvgpr_read_b32 v[vgprValuC+89], acc116 // copy acc to vreg[77]
v_accvgpr_read_b32 v[vgprValuC+90], acc120 // copy acc to vreg[78]
v_accvgpr_read_b32 v[vgprValuC+91], acc124 // copy acc to vreg[79]
v_accvgpr_read_b32 v[vgprValuC+92], acc65 // copy acc to vreg[80]
v_accvgpr_read_b32 v[vgprValuC+93], acc69 // copy acc to vreg[81]
v_accvgpr_read_b32 v[vgprValuC+94], acc73 // copy acc to vreg[82]
v_accvgpr_read_b32 v[vgprValuC+95], acc77 // copy acc to vreg[83]
v_accvgpr_read_b32 v[vgprValuC+96], acc81 // copy acc to vreg[84]
v_accvgpr_read_b32 v[vgprValuC+97], acc85 // copy acc to vreg[85]
v_accvgpr_read_b32 v[vgprValuC+98], acc89 // copy acc to vreg[86]
v_accvgpr_read_b32 v[vgprValuC+99], acc93 // copy acc to vreg[87]
v_accvgpr_read_b32 v[vgprValuC+100], acc97 // copy acc to vreg[88]
v_accvgpr_read_b32 v[vgprValuC+101], acc101 // copy acc to vreg[89]
v_accvgpr_read_b32 v[vgprValuC+102], acc105 // copy acc to vreg[90]
v_accvgpr_read_b32 v[vgprValuC+103], acc109 // copy acc to vreg[91]
v_accvgpr_read_b32 v[vgprValuC+104], acc113 // copy acc to vreg[92]
v_accvgpr_read_b32 v[vgprValuC+105], acc117 // copy acc to vreg[93]
v_accvgpr_read_b32 v[vgprValuC+106], acc121 // copy acc to vreg[94]
v_accvgpr_read_b32 v[vgprValuC+107], acc125 // copy acc to vreg[95]
v_accvgpr_read_b32 v[vgprValuC+108], acc66 // copy acc to vreg[96]
v_accvgpr_read_b32 v[vgprValuC+109], acc70 // copy acc to vreg[97]
v_accvgpr_read_b32 v[vgprValuC+110], acc74 // copy acc to vreg[98]
v_accvgpr_read_b32 v[vgprValuC+111], acc78 // copy acc to vreg[99]
v_accvgpr_read_b32 v[vgprValuC+112], acc82 // copy acc to vreg[100]
v_accvgpr_read_b32 v[vgprValuC+113], acc86 // copy acc to vreg[101]
v_accvgpr_read_b32 v[vgprValuC+114], acc90 // copy acc to vreg[102]
v_accvgpr_read_b32 v[vgprValuC+115], acc94 // copy acc to vreg[103]
v_accvgpr_read_b32 v[vgprValuC+120], acc98 // copy acc to vreg[104]
v_accvgpr_read_b32 v[vgprValuC+121], acc102 // copy acc to vreg[105]
v_accvgpr_read_b32 v[vgprValuC+122], acc106 // copy acc to vreg[106]
v_accvgpr_read_b32 v[vgprValuC+123], acc110 // copy acc to vreg[107]
v_accvgpr_read_b32 v[vgprValuC+124], acc114 // copy acc to vreg[108]
v_accvgpr_read_b32 v[vgprValuC+125], acc118 // copy acc to vreg[109]
v_accvgpr_read_b32 v[vgprValuC+126], acc122 // copy acc to vreg[110]
v_accvgpr_read_b32 v[vgprValuC+127], acc126 // copy acc to vreg[111]
v_accvgpr_read_b32 v[vgprValuC+128], acc67 // copy acc to vreg[112]
v_accvgpr_read_b32 v[vgprValuC+129], acc71 // copy acc to vreg[113]
v_accvgpr_read_b32 v[vgprValuC+130], acc75 // copy acc to vreg[114]
v_accvgpr_read_b32 v[vgprValuC+131], acc79 // copy acc to vreg[115]
v_accvgpr_read_b32 v[vgprValuC+132], acc83 // copy acc to vreg[116]
v_accvgpr_read_b32 v[vgprValuC+133], acc87 // copy acc to vreg[117]
v_accvgpr_read_b32 v[vgprValuC+134], acc91 // copy acc to vreg[118]
v_accvgpr_read_b32 v[vgprValuC+135], acc95 // copy acc to vreg[119]
v_accvgpr_read_b32 v[vgprValuC+136], acc99 // copy acc to vreg[120]
v_accvgpr_read_b32 v[vgprValuC+137], acc103 // copy acc to vreg[121]
v_accvgpr_read_b32 v[vgprValuC+138], acc107 // copy acc to vreg[122]
v_accvgpr_read_b32 v[vgprValuC+139], acc111 // copy acc to vreg[123]
v_accvgpr_read_b32 v[vgprValuC+140], acc115 // copy acc to vreg[124]
v_accvgpr_read_b32 v[vgprValuC+141], acc119 // copy acc to vreg[125]
v_accvgpr_read_b32 v[vgprValuC+142], acc123 // copy acc to vreg[126]
v_accvgpr_read_b32 v[vgprValuC+143], acc127 // copy acc to vreg[127]
v_accvgpr_read_b32 v[vgprValuC+144], acc128 // copy acc to vreg[128]
v_accvgpr_read_b32 v[vgprValuC+145], acc132 // copy acc to vreg[129]
v_accvgpr_read_b32 v[vgprValuC+146], acc136 // copy acc to vreg[130]
v_accvgpr_read_b32 v[vgprValuC+147], acc140 // copy acc to vreg[131]
v_accvgpr_read_b32 v[vgprValuC+148], acc144 // copy acc to vreg[132]
v_accvgpr_read_b32 v[vgprValuC+149], acc148 // copy acc to vreg[133]
v_accvgpr_read_b32 v[vgprValuC+150], acc152 // copy acc to vreg[134]
v_accvgpr_read_b32 v[vgprValuC+151], acc156 // copy acc to vreg[135]
v_accvgpr_read_b32 v[vgprValuC+152], acc160 // copy acc to vreg[136]
v_accvgpr_read_b32 v[vgprValuC+153], acc164 // copy acc to vreg[137]
v_accvgpr_read_b32 v[vgprValuC+154], acc168 // copy acc to vreg[138]
v_accvgpr_read_b32 v[vgprValuC+155], acc172 // copy acc to vreg[139]
v_accvgpr_read_b32 v[vgprValuC+156], acc176 // copy acc to vreg[140]
v_accvgpr_read_b32 v[vgprValuC+157], acc180 // copy acc to vreg[141]
v_accvgpr_read_b32 v[vgprValuC+158], acc184 // copy acc to vreg[142]
v_accvgpr_read_b32 v[vgprValuC+159], acc188 // copy acc to vreg[143]
v_accvgpr_read_b32 v[vgprValuC+160], acc129 // copy acc to vreg[144]
v_accvgpr_read_b32 v[vgprValuC+161], acc133 // copy acc to vreg[145]
v_accvgpr_read_b32 v[vgprValuC+162], acc137 // copy acc to vreg[146]
v_accvgpr_read_b32 v[vgprValuC+163], acc141 // copy acc to vreg[147]
v_accvgpr_read_b32 v[vgprValuC+164], acc145 // copy acc to vreg[148]
v_accvgpr_read_b32 v[vgprValuC+165], acc149 // copy acc to vreg[149]
v_accvgpr_read_b32 v[vgprValuC+166], acc153 // copy acc to vreg[150]
v_accvgpr_read_b32 v[vgprValuC+167], acc157 // copy acc to vreg[151]
v_accvgpr_read_b32 v[vgprValuC+168], acc161 // copy acc to vreg[152]
v_accvgpr_read_b32 v[vgprValuC+169], acc165 // copy acc to vreg[153]
v_accvgpr_read_b32 v[vgprValuC+170], acc169 // copy acc to vreg[154]
v_accvgpr_read_b32 v[vgprValuC+171], acc173 // copy acc to vreg[155]
v_accvgpr_read_b32 v[vgprValuC+172], acc177 // copy acc to vreg[156]
v_accvgpr_read_b32 v[vgprValuC+173], acc181 // copy acc to vreg[157]
v_accvgpr_read_b32 v[vgprValuC+174], acc185 // copy acc to vreg[158]
v_accvgpr_read_b32 v[vgprValuC+175], acc189 // copy acc to vreg[159]
v_accvgpr_read_b32 v[vgprValuC+176], acc130 // copy acc to vreg[160]
v_accvgpr_read_b32 v[vgprValuC+177], acc134 // copy acc to vreg[161]
v_accvgpr_read_b32 v[vgprValuC+178], acc138 // copy acc to vreg[162]
v_accvgpr_read_b32 v[vgprValuC+179], acc142 // copy acc to vreg[163]
v_accvgpr_read_b32 v[vgprValuC+180], acc146 // copy acc to vreg[164]
v_accvgpr_read_b32 v[vgprValuC+181], acc150 // copy acc to vreg[165]
v_accvgpr_read_b32 v[vgprValuC+182], acc154 // copy acc to vreg[166]
v_accvgpr_read_b32 v[vgprValuC+183], acc158 // copy acc to vreg[167]
v_accvgpr_read_b32 v[vgprValuC+184], acc162 // copy acc to vreg[168]
v_accvgpr_read_b32 v[vgprValuC+185], acc166 // copy acc to vreg[169]
v_accvgpr_read_b32 v[vgprValuC+186], acc170 // copy acc to vreg[170]
v_accvgpr_read_b32 v[vgprValuC+187], acc174 // copy acc to vreg[171]
v_accvgpr_read_b32 v[vgprValuC+188], acc178 // copy acc to vreg[172]
v_accvgpr_read_b32 v[vgprValuC+189], acc182 // copy acc to vreg[173]
v_accvgpr_read_b32 v[vgprValuC+190], acc186 // copy acc to vreg[174]
v_accvgpr_read_b32 v[vgprValuC+191], acc190 // copy acc to vreg[175]
v_accvgpr_read_b32 v[vgprValuC+192], acc131 // copy acc to vreg[176]
v_accvgpr_read_b32 v[vgprValuC+193], acc135 // copy acc to vreg[177]
v_accvgpr_read_b32 v[vgprValuC+194], acc139 // copy acc to vreg[178]
v_accvgpr_read_b32 v[vgprValuC+195], acc143 // copy acc to vreg[179]
v_accvgpr_read_b32 v[vgprValuC+196], acc147 // copy acc to vreg[180]
v_accvgpr_read_b32 v[vgprValuC+197], acc151 // copy acc to vreg[181]
v_accvgpr_read_b32 v[vgprValuC+198], acc155 // copy acc to vreg[182]
v_accvgpr_read_b32 v[vgprValuC+199], acc159 // copy acc to vreg[183]
v_accvgpr_read_b32 v[vgprValuC+200], acc163 // copy acc to vreg[184]
v_accvgpr_read_b32 v[vgprValuC+201], acc167 // copy acc to vreg[185]
v_accvgpr_read_b32 v[vgprValuC+202], acc171 // copy acc to vreg[186]
v_accvgpr_read_b32 v[vgprValuC+203], acc175 // copy acc to vreg[187]
v_accvgpr_read_b32 v[vgprValuC+204], acc179 // copy acc to vreg[188]
v_accvgpr_read_b32 v[vgprValuC+205], acc183 // copy acc to vreg[189]
v_accvgpr_read_b32 v[vgprValuC+206], acc187 // copy acc to vreg[190]
v_accvgpr_read_b32 v[vgprValuC+207], acc191 // copy acc to vreg[191]
v_accvgpr_read_b32 v[vgprValuC+208], acc192 // copy acc to vreg[192]
v_accvgpr_read_b32 v[vgprValuC+209], acc196 // copy acc to vreg[193]
v_accvgpr_read_b32 v[vgprValuC+210], acc200 // copy acc to vreg[194]
v_accvgpr_read_b32 v[vgprValuC+211], acc204 // copy acc to vreg[195]
v_accvgpr_read_b32 v[vgprValuC+212], acc208 // copy acc to vreg[196]
v_accvgpr_read_b32 v[vgprValuC+213], acc212 // copy acc to vreg[197]
v_accvgpr_read_b32 v[vgprValuC+214], acc216 // copy acc to vreg[198]
v_accvgpr_read_b32 v[vgprValuC+215], acc220 // copy acc to vreg[199]
v_accvgpr_read_b32 v[vgprValuC+216], acc224 // copy acc to vreg[200]
v_accvgpr_read_b32 v[vgprValuC+217], acc228 // copy acc to vreg[201]
v_accvgpr_read_b32 v[vgprValuC+218], acc232 // copy acc to vreg[202]
v_accvgpr_read_b32 v[vgprValuC+219], acc236 // copy acc to vreg[203]
v_accvgpr_read_b32 v[vgprValuC+220], acc240 // copy acc to vreg[204]
v_accvgpr_read_b32 v[vgprValuC+221], acc244 // copy acc to vreg[205]
v_accvgpr_read_b32 v[vgprValuC+222], acc248 // copy acc to vreg[206]
v_accvgpr_read_b32 v[vgprValuC+223], acc252 // copy acc to vreg[207]
v_accvgpr_read_b32 v[vgprValuC+224], acc193 // copy acc to vreg[208]
v_accvgpr_read_b32 v[vgprValuC+225], acc197 // copy acc to vreg[209]
v_accvgpr_read_b32 v[vgprValuC+226], acc201 // copy acc to vreg[210]
v_accvgpr_read_b32 v[vgprValuC+227], acc205 // copy acc to vreg[211]
v_accvgpr_read_b32 v[vgprValuC+228], acc209 // copy acc to vreg[212]
v_accvgpr_read_b32 v[vgprValuC+229], acc213 // copy acc to vreg[213]
v_accvgpr_read_b32 v[vgprValuC+230], acc217 // copy acc to vreg[214]
v_accvgpr_read_b32 v[vgprValuC+231], acc221 // copy acc to vreg[215]
v_accvgpr_read_b32 v[vgprValuC+232], acc225 // copy acc to vreg[216]
v_accvgpr_read_b32 v[vgprValuC+233], acc229 // copy acc to vreg[217]
v_accvgpr_read_b32 v[vgprValuC+234], acc233 // copy acc to vreg[218]
v_accvgpr_read_b32 v[vgprValuC+235], acc237 // copy acc to vreg[219]
v_accvgpr_read_b32 v[vgprValuC+236], acc241 // copy acc to vreg[220]
v_accvgpr_read_b32 v[vgprValuC+237], acc245 // copy acc to vreg[221]
v_accvgpr_read_b32 v[vgprValuC+238], acc249 // copy acc to vreg[222]
v_accvgpr_read_b32 v[vgprValuC+239], acc253 // copy acc to vreg[223]
v_accvgpr_read_b32 v[vgprValuC+240], acc194 // copy acc to vreg[224]
v_accvgpr_read_b32 v[vgprValuC+241], acc198 // copy acc to vreg[225]
v_accvgpr_read_b32 v[vgprValuC+242], acc202 // copy acc to vreg[226]
v_accvgpr_read_b32 v[vgprValuC+243], acc206 // copy acc to vreg[227]
v_accvgpr_read_b32 v[vgprValuC+244], acc210 // copy acc to vreg[228]
v_accvgpr_read_b32 v[vgprValuC+245], acc214 // copy acc to vreg[229]
v_accvgpr_read_b32 v[vgprValuC+246], acc218 // copy acc to vreg[230]
v_accvgpr_read_b32 v[vgprValuC+247], acc222 // copy acc to vreg[231]
v_accvgpr_read_b32 v[vgprValuC+248], acc226 // copy acc to vreg[232]
v_accvgpr_read_b32 v[vgprValuC+249], acc230 // copy acc to vreg[233]
v_accvgpr_read_b32 v[vgprValuC+250], acc234 // copy acc to vreg[234]
v_accvgpr_read_b32 v[vgprValuC+251], acc238 // copy acc to vreg[235]
v_accvgpr_read_b32 v[vgprValuC+252], acc242 // copy acc to vreg[236]
v_accvgpr_read_b32 v[vgprValuC+253], acc246 // copy acc to vreg[237]
v_accvgpr_read_b32 v[vgprValuC+254], acc250 // copy acc to vreg[238]
v_accvgpr_read_b32 v[vgprValuC+255], acc254 // copy acc to vreg[239]
s_nop 1                                            // 2 wait states required before reading vgpr

/* apply mask, calc new C and issue writes */
v_mov_b32 v7, 0xffff0000                           // mask for pack two bfloat16 element to 32bit
v_mov_b32 v8, 0x7fff0000                           // fp32 Nan
v_mov_b32 v9, 0x7fff                               // rounding bias for bfloat16
v_cmp_u_f32 s[54:55], v[vgprValuC+12], v[vgprValuC+12] // check Nan
v_bfe_u32 v6, v[vgprValuC+12], 16, 1               // Non-Nan case: store lsb of bf16
v_add3_u32 v6, v[vgprValuC+12], v6, v9             // Non-Nan case: add lsb and the increment for rounding
v_cndmask_b32 v[vgprValuC+12], v6, v8, s[54:55]    // 
v_lshrrev_b32 v[vgprValuC+12], 16, v[vgprValuC+12] // convert C to bf16
v_cmp_u_f32 s[54:55], v[vgprValuC+13], v[vgprValuC+13] // check Nan
v_bfe_u32 v6, v[vgprValuC+13], 16, 1               // Non-Nan case: store lsb of bf16
v_add3_u32 v6, v[vgprValuC+13], v6, v9             // Non-Nan case: add lsb and the increment for rounding
v_cndmask_b32 v[vgprValuC+13], v6, v8, s[54:55]    // 
v_and_or_b32 v12, v[vgprValuC+13], v7, v[vgprValuC+12] // pack two bf16 to dword
v_cmp_u_f32 s[54:55], v[vgprValuC+14], v[vgprValuC+14] // check Nan
v_bfe_u32 v6, v[vgprValuC+14], 16, 1               // Non-Nan case: store lsb of bf16
v_add3_u32 v6, v[vgprValuC+14], v6, v9             // Non-Nan case: add lsb and the increment for rounding
v_cndmask_b32 v[vgprValuC+14], v6, v8, s[54:55]    // 
v_lshrrev_b32 v[vgprValuC+14], 16, v[vgprValuC+14] // convert C to bf16
v_cmp_u_f32 s[54:55], v[vgprValuC+15], v[vgprValuC+15] // check Nan
v_bfe_u32 v6, v[vgprValuC+15], 16, 1               // Non-Nan case: store lsb of bf16
v_add3_u32 v6, v[vgprValuC+15], v6, v9             // Non-Nan case: add lsb and the increment for rounding
v_cndmask_b32 v[vgprValuC+15], v6, v8, s[54:55]    // 
v_and_or_b32 v13, v[vgprValuC+15], v7, v[vgprValuC+14] // pack two bf16 to dword
	;; [unrolled: 10-line block ×44, first 2 shown]
v_cmp_u_f32 s[54:55], v[vgprValuC+100], v[vgprValuC+100] // check Nan
v_bfe_u32 v6, v[vgprValuC+100], 16, 1              // Non-Nan case: store lsb of bf16
v_add3_u32 v6, v[vgprValuC+100], v6, v9            // Non-Nan case: add lsb and the increment for rounding
v_cndmask_b32 v[vgprValuC+100], v6, v8, s[54:55]   // 
v_lshrrev_b32 v[vgprValuC+100], 16, v[vgprValuC+100] // convert C to bf16
v_cmp_u_f32 s[54:55], v[vgprValuC+101], v[vgprValuC+101] // check Nan
v_bfe_u32 v6, v[vgprValuC+101], 16, 1              // Non-Nan case: store lsb of bf16
v_add3_u32 v6, v[vgprValuC+101], v6, v9            // Non-Nan case: add lsb and the increment for rounding
v_cndmask_b32 v[vgprValuC+101], v6, v8, s[54:55]   // 
v_and_or_b32 v100, v[vgprValuC+101], v7, v[vgprValuC+100] // pack two bf16 to dword
v_cmp_u_f32 s[54:55], v[vgprValuC+102], v[vgprValuC+102] // check Nan
v_bfe_u32 v6, v[vgprValuC+102], 16, 1              // Non-Nan case: store lsb of bf16
v_add3_u32 v6, v[vgprValuC+102], v6, v9            // Non-Nan case: add lsb and the increment for rounding
v_cndmask_b32 v[vgprValuC+102], v6, v8, s[54:55]   // 
v_lshrrev_b32 v[vgprValuC+102], 16, v[vgprValuC+102] // convert C to bf16
v_cmp_u_f32 s[54:55], v[vgprValuC+103], v[vgprValuC+103] // check Nan
v_bfe_u32 v6, v[vgprValuC+103], 16, 1              // Non-Nan case: store lsb of bf16
v_add3_u32 v6, v[vgprValuC+103], v6, v9            // Non-Nan case: add lsb and the increment for rounding
v_cndmask_b32 v[vgprValuC+103], v6, v8, s[54:55]   // 
v_and_or_b32 v101, v[vgprValuC+103], v7, v[vgprValuC+102] // pack two bf16 to dword
	;; [unrolled: 10-line block ×76, first 2 shown]
_buffer_store_b64 v[12:13], v10, s[sgprSrdD:sgprSrdD+3], 0, offen, offset:0,  sc0 sc1 // store D
_buffer_store_b64 v[16:17], v10, s[sgprSrdD:sgprSrdD+3], 0, offen, offset:128,  sc0 sc1 // store D
_buffer_store_b64 v[20:21], v10, s[sgprSrdD:sgprSrdD+3], 0, offen, offset:256,  sc0 sc1 // store D
_buffer_store_b64 v[24:25], v10, s[sgprSrdD:sgprSrdD+3], 0, offen, offset:384,  sc0 sc1 // store D
s_lshl_b32  s54, s[sgprStrideD1J], 1               // incToNextRow: Scale by BPE
s_add_u32  s[sgprSrdD+0], s[sgprSrdD+0], s54       // incToNextRow: gra SRD += inc(lower)
s_addc_u32  s[sgprSrdD+1], s[sgprSrdD+1], 0        // incToNextRow: gra SRD += inc(upper)
_buffer_store_b64 v[28:29], v10, s[sgprSrdD:sgprSrdD+3], 0, offen, offset:0,  sc0 sc1 // store D
_buffer_store_b64 v[32:33], v10, s[sgprSrdD:sgprSrdD+3], 0, offen, offset:128,  sc0 sc1 // store D
_buffer_store_b64 v[36:37], v10, s[sgprSrdD:sgprSrdD+3], 0, offen, offset:256,  sc0 sc1 // store D
_buffer_store_b64 v[40:41], v10, s[sgprSrdD:sgprSrdD+3], 0, offen, offset:384,  sc0 sc1 // store D
s_lshl_b32  s54, s[sgprStrideD1J], 1               // incToNextRow: Scale by BPE
s_add_u32  s[sgprSrdD+0], s[sgprSrdD+0], s54       // incToNextRow: gra SRD += inc(lower)
s_addc_u32  s[sgprSrdD+1], s[sgprSrdD+1], 0        // incToNextRow: gra SRD += inc(upper)
_buffer_store_b64 v[44:45], v10, s[sgprSrdD:sgprSrdD+3], 0, offen, offset:0,  sc0 sc1 // store D
_buffer_store_b64 v[48:49], v10, s[sgprSrdD:sgprSrdD+3], 0, offen, offset:128,  sc0 sc1 // store D
_buffer_store_b64 v[52:53], v10, s[sgprSrdD:sgprSrdD+3], 0, offen, offset:256,  sc0 sc1 // store D
_buffer_store_b64 v[56:57], v10, s[sgprSrdD:sgprSrdD+3], 0, offen, offset:384,  sc0 sc1 // store D
s_lshl_b32  s54, s[sgprStrideD1J], 1               // incToNextRow: Scale by BPE
s_add_u32  s[sgprSrdD+0], s[sgprSrdD+0], s54       // incToNextRow: gra SRD += inc(lower)
s_addc_u32  s[sgprSrdD+1], s[sgprSrdD+1], 0        // incToNextRow: gra SRD += inc(upper)
_buffer_store_b64 v[60:61], v10, s[sgprSrdD:sgprSrdD+3], 0, offen, offset:0,  sc0 sc1 // store D
_buffer_store_b64 v[64:65], v10, s[sgprSrdD:sgprSrdD+3], 0, offen, offset:128,  sc0 sc1 // store D
_buffer_store_b64 v[68:69], v10, s[sgprSrdD:sgprSrdD+3], 0, offen, offset:256,  sc0 sc1 // store D
_buffer_store_b64 v[72:73], v10, s[sgprSrdD:sgprSrdD+3], 0, offen, offset:384,  sc0 sc1 // store D
s_mul_i32 s54, s[sgprStrideD1J], 122               // scale StrideD *= numRows(61) * bpe
s_add_u32  s[sgprSrdD+0], s[sgprSrdD+0], s54       // incToNextRow: gra SRD += inc(lower)
s_addc_u32  s[sgprSrdD+1], s[sgprSrdD+1], 0        // incToNextRow: gra SRD += inc(upper)
_buffer_store_b64 v[76:77], v10, s[sgprSrdD:sgprSrdD+3], 0, offen, offset:0,  sc0 sc1 // store D
_buffer_store_b64 v[80:81], v10, s[sgprSrdD:sgprSrdD+3], 0, offen, offset:128,  sc0 sc1 // store D
_buffer_store_b64 v[84:85], v10, s[sgprSrdD:sgprSrdD+3], 0, offen, offset:256,  sc0 sc1 // store D
_buffer_store_b64 v[88:89], v10, s[sgprSrdD:sgprSrdD+3], 0, offen, offset:384,  sc0 sc1 // store D
s_lshl_b32  s54, s[sgprStrideD1J], 1               // incToNextRow: Scale by BPE
s_add_u32  s[sgprSrdD+0], s[sgprSrdD+0], s54       // incToNextRow: gra SRD += inc(lower)
s_addc_u32  s[sgprSrdD+1], s[sgprSrdD+1], 0        // incToNextRow: gra SRD += inc(upper)
_buffer_store_b64 v[92:93], v10, s[sgprSrdD:sgprSrdD+3], 0, offen, offset:0,  sc0 sc1 // store D
_buffer_store_b64 v[96:97], v10, s[sgprSrdD:sgprSrdD+3], 0, offen, offset:128,  sc0 sc1 // store D
_buffer_store_b64 v[100:101], v10, s[sgprSrdD:sgprSrdD+3], 0, offen, offset:256,  sc0 sc1 // store D
_buffer_store_b64 v[104:105], v10, s[sgprSrdD:sgprSrdD+3], 0, offen, offset:384,  sc0 sc1 // store D
s_lshl_b32  s54, s[sgprStrideD1J], 1               // incToNextRow: Scale by BPE
s_add_u32  s[sgprSrdD+0], s[sgprSrdD+0], s54       // incToNextRow: gra SRD += inc(lower)
s_addc_u32  s[sgprSrdD+1], s[sgprSrdD+1], 0        // incToNextRow: gra SRD += inc(upper)
_buffer_store_b64 v[108:109], v10, s[sgprSrdD:sgprSrdD+3], 0, offen, offset:0,  sc0 sc1 // store D
_buffer_store_b64 v[112:113], v10, s[sgprSrdD:sgprSrdD+3], 0, offen, offset:128,  sc0 sc1 // store D
_buffer_store_b64 v[120:121], v10, s[sgprSrdD:sgprSrdD+3], 0, offen, offset:256,  sc0 sc1 // store D
_buffer_store_b64 v[124:125], v10, s[sgprSrdD:sgprSrdD+3], 0, offen, offset:384,  sc0 sc1 // store D
s_lshl_b32  s54, s[sgprStrideD1J], 1               // incToNextRow: Scale by BPE
s_add_u32  s[sgprSrdD+0], s[sgprSrdD+0], s54       // incToNextRow: gra SRD += inc(lower)
s_addc_u32  s[sgprSrdD+1], s[sgprSrdD+1], 0        // incToNextRow: gra SRD += inc(upper)
_buffer_store_b64 v[128:129], v10, s[sgprSrdD:sgprSrdD+3], 0, offen, offset:0,  sc0 sc1 // store D
_buffer_store_b64 v[132:133], v10, s[sgprSrdD:sgprSrdD+3], 0, offen, offset:128,  sc0 sc1 // store D
_buffer_store_b64 v[136:137], v10, s[sgprSrdD:sgprSrdD+3], 0, offen, offset:256,  sc0 sc1 // store D
_buffer_store_b64 v[140:141], v10, s[sgprSrdD:sgprSrdD+3], 0, offen, offset:384,  sc0 sc1 // store D
s_mul_i32 s54, s[sgprStrideD1J], 122               // scale StrideD *= numRows(61) * bpe
s_add_u32  s[sgprSrdD+0], s[sgprSrdD+0], s54       // incToNextRow: gra SRD += inc(lower)
s_addc_u32  s[sgprSrdD+1], s[sgprSrdD+1], 0        // incToNextRow: gra SRD += inc(upper)
	;; [unrolled: 28-line block ×3, first 2 shown]
_buffer_store_b64 v[208:209], v10, s[sgprSrdD:sgprSrdD+3], 0, offen, offset:0,  sc0 sc1 // store D
_buffer_store_b64 v[212:213], v10, s[sgprSrdD:sgprSrdD+3], 0, offen, offset:128,  sc0 sc1 // store D
_buffer_store_b64 v[216:217], v10, s[sgprSrdD:sgprSrdD+3], 0, offen, offset:256,  sc0 sc1 // store D
_buffer_store_b64 v[220:221], v10, s[sgprSrdD:sgprSrdD+3], 0, offen, offset:384,  sc0 sc1 // store D
s_lshl_b32  s54, s[sgprStrideD1J], 1               // incToNextRow: Scale by BPE
s_add_u32  s[sgprSrdD+0], s[sgprSrdD+0], s54       // incToNextRow: gra SRD += inc(lower)
s_addc_u32  s[sgprSrdD+1], s[sgprSrdD+1], 0        // incToNextRow: gra SRD += inc(upper)
_buffer_store_b64 v[224:225], v10, s[sgprSrdD:sgprSrdD+3], 0, offen, offset:0,  sc0 sc1 // store D
_buffer_store_b64 v[228:229], v10, s[sgprSrdD:sgprSrdD+3], 0, offen, offset:128,  sc0 sc1 // store D
	;; [unrolled: 1-line block ×4, first 2 shown]
s_lshl_b32  s54, s[sgprStrideD1J], 1               // incToNextRow: Scale by BPE
s_add_u32  s[sgprSrdD+0], s[sgprSrdD+0], s54       // incToNextRow: gra SRD += inc(lower)
s_addc_u32  s[sgprSrdD+1], s[sgprSrdD+1], 0        // incToNextRow: gra SRD += inc(upper)
_buffer_store_b64 v[240:241], v10, s[sgprSrdD:sgprSrdD+3], 0, offen, offset:0,  sc0 sc1 // store D
_buffer_store_b64 v[244:245], v10, s[sgprSrdD:sgprSrdD+3], 0, offen, offset:128,  sc0 sc1 // store D
	;; [unrolled: 1-line block ×4, first 2 shown]
s_nop 0                                            // 1 wait state required when next inst writes vgprs held by previous dwordx4 store inst
/* optSingleColVgpr=1 optSharedColVgpr=0 optSGPRUsage=BufferLoad_Mask optSrdIncForRow=1 */
s_sleep 5 // optimization: sync and wait
s_barrier

/******************************************/
/* Global Write Batch #1 (d1,d0,vc1,vc0) = */
/*    (3,0,3,0:vw4); (3,1,3,0:vw4); (3,2,3,0:vw4); (3,3,3,0:vw4) */
/******************************************/

/* calc coords, apply mask, and issue loads (if necessary) */
/* (d1,vc1,d0,vc0)=(3,3,0,0) */
/* (d1,vc1,d0,vc0)=(3,3,1,0) */
	;; [unrolled: 1-line block ×4, first 2 shown]
v_accvgpr_read_b32 v[vgprValuC+12], acc195 // copy acc to vreg[240]
v_accvgpr_read_b32 v[vgprValuC+13], acc199 // copy acc to vreg[241]
v_accvgpr_read_b32 v[vgprValuC+14], acc203 // copy acc to vreg[242]
v_accvgpr_read_b32 v[vgprValuC+15], acc207 // copy acc to vreg[243]
v_accvgpr_read_b32 v[vgprValuC+16], acc211 // copy acc to vreg[244]
v_accvgpr_read_b32 v[vgprValuC+17], acc215 // copy acc to vreg[245]
v_accvgpr_read_b32 v[vgprValuC+18], acc219 // copy acc to vreg[246]
v_accvgpr_read_b32 v[vgprValuC+19], acc223 // copy acc to vreg[247]
v_accvgpr_read_b32 v[vgprValuC+20], acc227 // copy acc to vreg[248]
v_accvgpr_read_b32 v[vgprValuC+21], acc231 // copy acc to vreg[249]
v_accvgpr_read_b32 v[vgprValuC+22], acc235 // copy acc to vreg[250]
v_accvgpr_read_b32 v[vgprValuC+23], acc239 // copy acc to vreg[251]
v_accvgpr_read_b32 v[vgprValuC+24], acc243 // copy acc to vreg[252]
v_accvgpr_read_b32 v[vgprValuC+25], acc247 // copy acc to vreg[253]
v_accvgpr_read_b32 v[vgprValuC+26], acc251 // copy acc to vreg[254]
v_accvgpr_read_b32 v[vgprValuC+27], acc255 // copy acc to vreg[255]
s_nop 1                                            // 2 wait states required before reading vgpr

/* apply mask, calc new C and issue writes */
v_mov_b32 v7, 0xffff0000                           // mask for pack two bfloat16 element to 32bit
v_mov_b32 v8, 0x7fff0000                           // fp32 Nan
v_mov_b32 v9, 0x7fff                               // rounding bias for bfloat16
v_cmp_u_f32 s[54:55], v[vgprValuC+12], v[vgprValuC+12] // check Nan
v_bfe_u32 v6, v[vgprValuC+12], 16, 1               // Non-Nan case: store lsb of bf16
v_add3_u32 v6, v[vgprValuC+12], v6, v9             // Non-Nan case: add lsb and the increment for rounding
v_cndmask_b32 v[vgprValuC+12], v6, v8, s[54:55]    // 
v_lshrrev_b32 v[vgprValuC+12], 16, v[vgprValuC+12] // convert C to bf16
v_cmp_u_f32 s[54:55], v[vgprValuC+13], v[vgprValuC+13] // check Nan
v_bfe_u32 v6, v[vgprValuC+13], 16, 1               // Non-Nan case: store lsb of bf16
v_add3_u32 v6, v[vgprValuC+13], v6, v9             // Non-Nan case: add lsb and the increment for rounding
v_cndmask_b32 v[vgprValuC+13], v6, v8, s[54:55]    // 
v_and_or_b32 v12, v[vgprValuC+13], v7, v[vgprValuC+12] // pack two bf16 to dword
v_cmp_u_f32 s[54:55], v[vgprValuC+14], v[vgprValuC+14] // check Nan
v_bfe_u32 v6, v[vgprValuC+14], 16, 1               // Non-Nan case: store lsb of bf16
v_add3_u32 v6, v[vgprValuC+14], v6, v9             // Non-Nan case: add lsb and the increment for rounding
v_cndmask_b32 v[vgprValuC+14], v6, v8, s[54:55]    // 
v_lshrrev_b32 v[vgprValuC+14], 16, v[vgprValuC+14] // convert C to bf16
v_cmp_u_f32 s[54:55], v[vgprValuC+15], v[vgprValuC+15] // check Nan
v_bfe_u32 v6, v[vgprValuC+15], 16, 1               // Non-Nan case: store lsb of bf16
v_add3_u32 v6, v[vgprValuC+15], v6, v9             // Non-Nan case: add lsb and the increment for rounding
v_cndmask_b32 v[vgprValuC+15], v6, v8, s[54:55]    // 
v_and_or_b32 v13, v[vgprValuC+15], v7, v[vgprValuC+14] // pack two bf16 to dword
	;; [unrolled: 10-line block ×8, first 2 shown]
s_lshl_b32  s54, s[sgprStrideD1J], 1               // incToNextRow: Scale by BPE
s_add_u32  s[sgprSrdD+0], s[sgprSrdD+0], s54       // incToNextRow: gra SRD += inc(lower)
s_addc_u32  s[sgprSrdD+1], s[sgprSrdD+1], 0        // incToNextRow: gra SRD += inc(upper)
_buffer_store_b64 v[12:13], v10, s[sgprSrdD:sgprSrdD+3], 0, offen, offset:0,  sc0 sc1 // store D
_buffer_store_b64 v[16:17], v10, s[sgprSrdD:sgprSrdD+3], 0, offen, offset:128,  sc0 sc1 // store D
	;; [unrolled: 1-line block ×4, first 2 shown]
s_nop 0                                            // 1 wait state required when next inst writes vgprs held by previous dwordx4 store inst
s_branch label_GW_End_23                           // jump to end
label_GW_End_23:

s_endpgm                                           // Kernel End
OptNLL_End_17:


/******************************************/
/* Ord. NoLoadLoop - Begin                                      */
/******************************************/


	;; [unrolled: 1-line block ×4, first 2 shown]
/* iter 0 (last unrolled loop) */

/*  grEndMfmaIndex:0, lwStartMfmaIndex:101, lwEndMfmaIndex:101  */
/*  numMfmaForLR:24, barrierMfmaIndex:103, LocalWritePerMfma:0.255 */
/*  mfmaIndex:0  */
s_waitcnt lgkmcnt(0)                               // lgkmcnt=0 vmcnt=-1wait for prior local read local write old=0, new=0 newLW=0 newLR=0
v_mfma_f32_16x16x16_bf16 a[0+0:3+0], v[vgprValuB_X0_I0+0+0+0:vgprValuB_X0_I0+0+0+0+1], v[vgprValuA_X0_I0+0+0+0:vgprValuA_X0_I0+0+0+0+1], a[0:3]
/*  mfmaIndex:1  */
_ds_load_b64 v[vgprValuA_X1_I0+0:vgprValuA_X1_I0+0+1], v[vgprLocalReadAddrA] offset:32 // L -> Reg lro=16 swapByteOffset=0 ti=64 vIdx=0 rIdx=0 oIdx=0 buffer=1 iui=0
v_mfma_f32_16x16x16_bf16 a[4+0:7+0], v[vgprValuB_X0_I0+0+0+0:vgprValuB_X0_I0+0+0+0+1], v[vgprValuA_X0_I0+2+0+0:vgprValuA_X0_I0+2+0+0+1], a[4:7]
/*  mfmaIndex:2  */
_ds_load_b64 v[vgprValuB_X1_I0+0:vgprValuB_X1_I0+0+1], v[vgprLocalReadAddrB] offset:32 // L -> Reg lro=16 swapByteOffset=0 ti=64 vIdx=0 rIdx=0 oIdx=0 buffer=1 iui=0
v_mfma_f32_16x16x16_bf16 a[8+0:11+0], v[vgprValuB_X0_I0+0+0+0:vgprValuB_X0_I0+0+0+0+1], v[vgprValuA_X0_I0+4+0+0:vgprValuA_X0_I0+4+0+0+1], a[8:11]
/*  mfmaIndex:3  */
_ds_load_b64 v[vgprValuA_X1_I0+2:vgprValuA_X1_I0+2+1], v[vgprLocalReadAddrA] offset:96 // L -> Reg lro=16 swapByteOffset=0 ti=64 vIdx=0 rIdx=0 oIdx=0 buffer=1 iui=0
v_mfma_f32_16x16x16_bf16 a[12+0:15+0], v[vgprValuB_X0_I0+0+0+0:vgprValuB_X0_I0+0+0+0+1], v[vgprValuA_X0_I0+6+0+0:vgprValuA_X0_I0+6+0+0+1], a[12:15]
/*  mfmaIndex:4  */
_ds_load_b64 v[vgprValuA_X1_I0+4:vgprValuA_X1_I0+4+1], v[vgprLocalReadAddrA] offset:160 // L -> Reg lro=16 swapByteOffset=0 ti=64 vIdx=0 rIdx=0 oIdx=0 buffer=1 iui=0
	;; [unrolled: 3-line block ×15, first 2 shown]
v_mfma_f32_16x16x16_bf16 a[120+0:123+0], v[vgprValuB_X0_I0+2+0+0:vgprValuB_X0_I0+2+0+0+1], v[vgprValuA_X0_I0+28+0+0:vgprValuA_X0_I0+28+0+0+1], a[120:123]
/*  mfmaIndex:18  */
_ds_load_b64 v[vgprValuB_X1_I0+2:vgprValuB_X1_I0+2+1], v[vgprLocalReadAddrB] offset:4640 // L -> Reg lro=16 swapByteOffset=0 ti=64 vIdx=1 rIdx=0 oIdx=0 buffer=1 iui=0
v_mfma_f32_16x16x16_bf16 a[116+0:119+0], v[vgprValuB_X0_I0+2+0+0:vgprValuB_X0_I0+2+0+0+1], v[vgprValuA_X0_I0+26+0+0:vgprValuA_X0_I0+26+0+0+1], a[116:119]
/*  mfmaIndex:19  */
_ds_load_b64 v[vgprValuB_X1_I0+4:vgprValuB_X1_I0+4+1], v[vgprLocalReadAddrB] offset:9248 // L -> Reg lro=16 swapByteOffset=0 ti=64 vIdx=2 rIdx=0 oIdx=0 buffer=1 iui=0
	;; [unrolled: 3-line block ×3, first 2 shown]
v_mfma_f32_16x16x16_bf16 a[108+0:111+0], v[vgprValuB_X0_I0+2+0+0:vgprValuB_X0_I0+2+0+0+1], v[vgprValuA_X0_I0+22+0+0:vgprValuA_X0_I0+22+0+0+1], a[108:111]
/*  mfmaIndex:21  */
/* localReadsVacancy: latencyLeft 2 */
v_mfma_f32_16x16x16_bf16 a[104+0:107+0], v[vgprValuB_X0_I0+2+0+0:vgprValuB_X0_I0+2+0+0+1], v[vgprValuA_X0_I0+20+0+0:vgprValuA_X0_I0+20+0+0+1], a[104:107]
/*  mfmaIndex:22  */
/* localReadsVacancy: latencyLeft 2 */
	;; [unrolled: 3-line block ×43, first 2 shown]
v_mfma_f32_16x16x16_bf16 a[192+0:195+0], v[vgprValuB_X0_I0+6+0+0:vgprValuB_X0_I0+6+0+0+1], v[vgprValuA_X0_I0+0+0+0:vgprValuA_X0_I0+0+0+0+1], a[192:195]
/* numPrefetchIter=0 */
/* dataAtIterA=-1 numReadsIterA=1 skipReadsIterA=1 readsPerIterA=16 */
/* dataAtIterB=-1 numReadsIterB=1 skipReadsIterB=1 readsPerIterB=4 */


/* iter 1 (last unrolled loop) */

/*  grEndMfmaIndex:0, lwStartMfmaIndex:101, lwEndMfmaIndex:101  */
/*  numMfmaForLR:24, barrierMfmaIndex:103, LocalWritePerMfma:0.255 */
/*  mfmaIndex:64  */
s_waitcnt lgkmcnt(0)                               // lgkmcnt=0 vmcnt=-1wait for prior local read local write old=0, new=0 newLW=0 newLR=0
v_mfma_f32_16x16x16_bf16 a[0+0:3+0], v[vgprValuB_X1_I0+0+0+0:vgprValuB_X1_I0+0+0+0+1], v[vgprValuA_X1_I0+0+0+0:vgprValuA_X1_I0+0+0+0+1], a[0:3]
/*  mfmaIndex:65  */
v_mfma_f32_16x16x16_bf16 a[4+0:7+0], v[vgprValuB_X1_I0+0+0+0:vgprValuB_X1_I0+0+0+0+1], v[vgprValuA_X1_I0+2+0+0:vgprValuA_X1_I0+2+0+0+1], a[4:7]
/*  mfmaIndex:66  */
	;; [unrolled: 2-line block ×36, first 2 shown]
/* 1 LDS buffer: read-sync-write */
s_waitcnt lgkmcnt(0)                               // 
s_barrier                                          // 
v_mfma_f32_16x16x16_bf16 a[144+0:147+0], v[vgprValuB_X1_I0+4+0+0:vgprValuB_X1_I0+4+0+0+1], v[vgprValuA_X1_I0+8+0+0:vgprValuA_X1_I0+8+0+0+1], a[144:147]
/*  mfmaIndex:101  */
s_setprio 3                                        // store optimization
v_mfma_f32_16x16x16_bf16 a[148+0:151+0], v[vgprValuB_X1_I0+4+0+0:vgprValuB_X1_I0+4+0+0+1], v[vgprValuA_X1_I0+10+0+0:vgprValuA_X1_I0+10+0+0+1], a[148:151]
/*  mfmaIndex:102  */
v_mfma_f32_16x16x16_bf16 a[152+0:155+0], v[vgprValuB_X1_I0+4+0+0:vgprValuB_X1_I0+4+0+0+1], v[vgprValuA_X1_I0+12+0+0:vgprValuA_X1_I0+12+0+0+1], a[152:155]
s_setprio 0                                        // store optimization
/*  mfmaIndex:103  */
v_mfma_f32_16x16x16_bf16 a[156+0:159+0], v[vgprValuB_X1_I0+4+0+0:vgprValuB_X1_I0+4+0+0+1], v[vgprValuA_X1_I0+14+0+0:vgprValuA_X1_I0+14+0+0+1], a[156:159]
/*  mfmaIndex:104  */
s_setprio 3                                        // store optimization
v_mfma_f32_16x16x16_bf16 a[160+0:163+0], v[vgprValuB_X1_I0+4+0+0:vgprValuB_X1_I0+4+0+0+1], v[vgprValuA_X1_I0+16+0+0:vgprValuA_X1_I0+16+0+0+1], a[160:163]
/*  mfmaIndex:105  */
v_mfma_f32_16x16x16_bf16 a[164+0:167+0], v[vgprValuB_X1_I0+4+0+0:vgprValuB_X1_I0+4+0+0+1], v[vgprValuA_X1_I0+18+0+0:vgprValuA_X1_I0+18+0+0+1], a[164:167]
/*  mfmaIndex:106  */
v_mfma_f32_16x16x16_bf16 a[168+0:171+0], v[vgprValuB_X1_I0+4+0+0:vgprValuB_X1_I0+4+0+0+1], v[vgprValuA_X1_I0+20+0+0:vgprValuA_X1_I0+20+0+0+1], a[168:171]
/*  mfmaIndex:107  */
v_mfma_f32_16x16x16_bf16 a[172+0:175+0], v[vgprValuB_X1_I0+4+0+0:vgprValuB_X1_I0+4+0+0+1], v[vgprValuA_X1_I0+22+0+0:vgprValuA_X1_I0+22+0+0+1], a[172:175]
/*  mfmaIndex:108  */
v_mfma_f32_16x16x16_bf16 a[176+0:179+0], v[vgprValuB_X1_I0+4+0+0:vgprValuB_X1_I0+4+0+0+1], v[vgprValuA_X1_I0+24+0+0:vgprValuA_X1_I0+24+0+0+1], a[176:179]
/*  mfmaIndex:109  */
v_mfma_f32_16x16x16_bf16 a[180+0:183+0], v[vgprValuB_X1_I0+4+0+0:vgprValuB_X1_I0+4+0+0+1], v[vgprValuA_X1_I0+26+0+0:vgprValuA_X1_I0+26+0+0+1], a[180:183]
/*  mfmaIndex:110  */
v_mfma_f32_16x16x16_bf16 a[184+0:187+0], v[vgprValuB_X1_I0+4+0+0:vgprValuB_X1_I0+4+0+0+1], v[vgprValuA_X1_I0+28+0+0:vgprValuA_X1_I0+28+0+0+1], a[184:187]
/*  mfmaIndex:111  */
v_mfma_f32_16x16x16_bf16 a[188+0:191+0], v[vgprValuB_X1_I0+4+0+0:vgprValuB_X1_I0+4+0+0+1], v[vgprValuA_X1_I0+30+0+0:vgprValuA_X1_I0+30+0+0+1], a[188:191]
/*  mfmaIndex:112  */
v_mfma_f32_16x16x16_bf16 a[252+0:255+0], v[vgprValuB_X1_I0+6+0+0:vgprValuB_X1_I0+6+0+0+1], v[vgprValuA_X1_I0+30+0+0:vgprValuA_X1_I0+30+0+0+1], a[252:255]
/*  mfmaIndex:113  */
v_mfma_f32_16x16x16_bf16 a[248+0:251+0], v[vgprValuB_X1_I0+6+0+0:vgprValuB_X1_I0+6+0+0+1], v[vgprValuA_X1_I0+28+0+0:vgprValuA_X1_I0+28+0+0+1], a[248:251]
/*  mfmaIndex:114  */
v_mfma_f32_16x16x16_bf16 a[244+0:247+0], v[vgprValuB_X1_I0+6+0+0:vgprValuB_X1_I0+6+0+0+1], v[vgprValuA_X1_I0+26+0+0:vgprValuA_X1_I0+26+0+0+1], a[244:247]
/*  mfmaIndex:115  */
v_mfma_f32_16x16x16_bf16 a[240+0:243+0], v[vgprValuB_X1_I0+6+0+0:vgprValuB_X1_I0+6+0+0+1], v[vgprValuA_X1_I0+24+0+0:vgprValuA_X1_I0+24+0+0+1], a[240:243]
/*  mfmaIndex:116  */
v_mfma_f32_16x16x16_bf16 a[236+0:239+0], v[vgprValuB_X1_I0+6+0+0:vgprValuB_X1_I0+6+0+0+1], v[vgprValuA_X1_I0+22+0+0:vgprValuA_X1_I0+22+0+0+1], a[236:239]
/*  mfmaIndex:117  */
v_mfma_f32_16x16x16_bf16 a[232+0:235+0], v[vgprValuB_X1_I0+6+0+0:vgprValuB_X1_I0+6+0+0+1], v[vgprValuA_X1_I0+20+0+0:vgprValuA_X1_I0+20+0+0+1], a[232:235]
/*  mfmaIndex:118  */
v_mfma_f32_16x16x16_bf16 a[228+0:231+0], v[vgprValuB_X1_I0+6+0+0:vgprValuB_X1_I0+6+0+0+1], v[vgprValuA_X1_I0+18+0+0:vgprValuA_X1_I0+18+0+0+1], a[228:231]
/*  mfmaIndex:119  */
v_mfma_f32_16x16x16_bf16 a[224+0:227+0], v[vgprValuB_X1_I0+6+0+0:vgprValuB_X1_I0+6+0+0+1], v[vgprValuA_X1_I0+16+0+0:vgprValuA_X1_I0+16+0+0+1], a[224:227]
/*  mfmaIndex:120  */
v_mfma_f32_16x16x16_bf16 a[220+0:223+0], v[vgprValuB_X1_I0+6+0+0:vgprValuB_X1_I0+6+0+0+1], v[vgprValuA_X1_I0+14+0+0:vgprValuA_X1_I0+14+0+0+1], a[220:223]
/*  mfmaIndex:121  */
v_mfma_f32_16x16x16_bf16 a[216+0:219+0], v[vgprValuB_X1_I0+6+0+0:vgprValuB_X1_I0+6+0+0+1], v[vgprValuA_X1_I0+12+0+0:vgprValuA_X1_I0+12+0+0+1], a[216:219]
/*  mfmaIndex:122  */
v_mfma_f32_16x16x16_bf16 a[212+0:215+0], v[vgprValuB_X1_I0+6+0+0:vgprValuB_X1_I0+6+0+0+1], v[vgprValuA_X1_I0+10+0+0:vgprValuA_X1_I0+10+0+0+1], a[212:215]
/*  mfmaIndex:123  */
v_mfma_f32_16x16x16_bf16 a[208+0:211+0], v[vgprValuB_X1_I0+6+0+0:vgprValuB_X1_I0+6+0+0+1], v[vgprValuA_X1_I0+8+0+0:vgprValuA_X1_I0+8+0+0+1], a[208:211]
/*  mfmaIndex:124  */
v_mfma_f32_16x16x16_bf16 a[204+0:207+0], v[vgprValuB_X1_I0+6+0+0:vgprValuB_X1_I0+6+0+0+1], v[vgprValuA_X1_I0+6+0+0:vgprValuA_X1_I0+6+0+0+1], a[204:207]
/*  mfmaIndex:125  */
v_mfma_f32_16x16x16_bf16 a[200+0:203+0], v[vgprValuB_X1_I0+6+0+0:vgprValuB_X1_I0+6+0+0+1], v[vgprValuA_X1_I0+4+0+0:vgprValuA_X1_I0+4+0+0+1], a[200:203]
/*  mfmaIndex:126  */
v_mfma_f32_16x16x16_bf16 a[196+0:199+0], v[vgprValuB_X1_I0+6+0+0:vgprValuB_X1_I0+6+0+0+1], v[vgprValuA_X1_I0+2+0+0:vgprValuA_X1_I0+2+0+0+1], a[196:199]
/*  mfmaIndex:127  */
v_mfma_f32_16x16x16_bf16 a[192+0:195+0], v[vgprValuB_X1_I0+6+0+0:vgprValuB_X1_I0+6+0+0+1], v[vgprValuA_X1_I0+0+0+0:vgprValuA_X1_I0+0+0+0+1], a[192:195]
/* numPrefetchIter=0 */
/* dataAtIterA=0 numReadsIterA=1 skipReadsIterA=0 readsPerIterA=16 */
/* dataAtIterB=0 numReadsIterB=1 skipReadsIterB=0 readsPerIterB=4 */

PrefetchGlobalLastIterEnd_5:


/******************************************/
/* Tail Loop                              */
/******************************************/


/* local write reset offsets a */


	;; [unrolled: 1-line block ×4, first 2 shown]
/* local write reset offsets b */


	;; [unrolled: 1-line block ×4, first 2 shown]
//numIterL = (((sizeL % LOCAL_DEPTHU) + LOCAL_SPLITU - 1) / LOCAL_SPLITU)
s_and_b32 s[sgprLoopCounterL], 31, s[sgprSizesSum+0] // s[sgprLoopCounterL] = s[sgprSizesSum+0] % 32
s_cmp_eq_u32 s[sgprLoopCounterL], 0x0              // numIterL == 0
s_cbranch_scc1 SkipTailLoopL_8                     // skip to end of tail loop b/c numIter==0
s_mov_b32 s[sgprOrigLoopCounter], 0                // repurpose to count each localRead increment


/* remove stagger offsets for tail loop */

s_mov_b32 s78, 3                                   // 
s_mul_hi_u32 s77, s78, s[sgprGlobalReadIncsA+0]    // 3 * GlobalReadIncs
s_mul_i32 s76, s78, s[sgprGlobalReadIncsA+0]       // 3 * GlobalReadIncs
s_mul_hi_u32 s79, s[sgprStaggerUIter], s[sgprGlobalReadIncsA+0] // StaggerUIter * GlobalReadIncs
s_mul_i32 s78, s[sgprStaggerUIter], s[sgprGlobalReadIncsA+0] // StaggerUIter * GlobalReadIncs
s_sub_u32 s76, s76, s78                            // start offset S in bytes
s_subb_u32 s77, s77, s79                           // start offset S in bytes
s_sub_u32 s76, s76, s[sgprWrapUA]                  // S - WrapU
s_subb_u32 s77, s77, s[sgprWrapUA+1]               // S - WrapU
s_add_u32 s[sgprSrdA+0], s[sgprSrdA+0], s76        // gra SRD += inc(lower)
s_addc_u32  s[sgprSrdA+1], s[sgprSrdA+1], s77      // gra SRD += inc(upper)
s_sub_u32 s[sgprShadowLimitA+0], s[sgprShadowLimitA+0], s76 // limit -= inc)
s_subb_u32 s[sgprShadowLimitA+1], s[sgprShadowLimitA+1], s77 // limit -= inc)
s_cmp_eq_u32 s[sgprShadowLimitA+1], 0              // are we within 2^32?
s_cselect_b32 s[sgprSrdA+2], s[sgprShadowLimitA+0], BufferLimitA // Move shadow to real if we are within 2^32

s_mov_b32 s78, 3                                   // 
s_mul_hi_u32 s77, s78, s[sgprGlobalReadIncsB+0]    // 3 * GlobalReadIncs
s_mul_i32 s76, s78, s[sgprGlobalReadIncsB+0]       // 3 * GlobalReadIncs
s_mul_hi_u32 s79, s[sgprStaggerUIter], s[sgprGlobalReadIncsB+0] // StaggerUIter * GlobalReadIncs
s_mul_i32 s78, s[sgprStaggerUIter], s[sgprGlobalReadIncsB+0] // StaggerUIter * GlobalReadIncs
s_sub_u32 s76, s76, s78                            // start offset S in bytes
s_subb_u32 s77, s77, s79                           // start offset S in bytes
s_sub_u32 s76, s76, s[sgprWrapUB]                  // S - WrapU
s_subb_u32 s77, s77, s[sgprWrapUB+1]               // S - WrapU
s_add_u32 s[sgprSrdB+0], s[sgprSrdB+0], s76        // gra SRD += inc(lower)
s_addc_u32  s[sgprSrdB+1], s[sgprSrdB+1], s77      // gra SRD += inc(upper)
s_sub_u32 s[sgprShadowLimitB+0], s[sgprShadowLimitB+0], s76 // limit -= inc)
s_subb_u32 s[sgprShadowLimitB+1], s[sgprShadowLimitB+1], s77 // limit -= inc)
s_cmp_eq_u32 s[sgprShadowLimitB+1], 0              // are we within 2^32?
s_cselect_b32 s[sgprSrdB+2], s[sgprShadowLimitB+0], BufferLimitB // Move shadow to real if we are within 2^32


/* Update M0 for DTLDS */


	;; [unrolled: 1-line block ×3, first 2 shown]
/* global read a */

/* g2l=0, load component 0 */
_buffer_load_d16_b16 v[vgprG2LA+0+0], v[vgprGlobalReadOffsetA+0], s[sgprSrdA:sgprSrdA+3], 0, offen offset:0 // load one buffer value
/* g2l=0, load component 1 */
_buffer_load_d16_hi_b16 v119, v[vgprGlobalReadOffsetA+0], s[sgprSrdA:sgprSrdA+3], 0, offen offset:2 // load one buffer value
s_waitcnt vmcnt(0)
v_or_b32 v[vgprG2LA+0+0], v[vgprG2LA+0+0], v119 // HasEccHalf: pack
/* g2l=1, load component 0 */
_buffer_load_d16_b16 v[vgprG2LA+1+0], v[vgprGlobalReadOffsetA+0], s[sgprSrdA:sgprSrdA+3], s[sgprScalarGlobalReadOffsetA+0], offen offset:0 // load one buffer value
/* g2l=1, load component 1 */
_buffer_load_d16_hi_b16 v119, v[vgprGlobalReadOffsetA+0], s[sgprSrdA:sgprSrdA+3], s[sgprScalarGlobalReadOffsetA+0], offen offset:2 // load one buffer value
s_waitcnt vmcnt(0)
v_or_b32 v[vgprG2LA+1+0], v[vgprG2LA+1+0], v119 // HasEccHalf: pack
/* g2l=2, load component 0 */
_buffer_load_d16_b16 v[vgprG2LA+2+0], v[vgprGlobalReadOffsetA+0], s[sgprSrdA:sgprSrdA+3], s[sgprScalarGlobalReadOffsetA+1], offen offset:0 // load one buffer value
/* g2l=2, load component 1 */
_buffer_load_d16_hi_b16 v119, v[vgprGlobalReadOffsetA+0], s[sgprSrdA:sgprSrdA+3], s[sgprScalarGlobalReadOffsetA+1], offen offset:2 // load one buffer value
	;; [unrolled: 6-line block ×15, first 2 shown]
s_waitcnt vmcnt(0)
v_or_b32 v[vgprG2LA+15+0], v[vgprG2LA+15+0], v119 // HasEccHalf: pack


/* Update M0 for DTLDS */


	;; [unrolled: 1-line block ×3, first 2 shown]
/* global read b */

/* g2l=0, load component 0 */
_buffer_load_d16_b16 v[vgprG2LB+0+0], v[vgprGlobalReadOffsetB+0], s[sgprSrdB:sgprSrdB+3], 0, offen offset:0 // load one buffer value
/* g2l=0, load component 1 */
_buffer_load_d16_hi_b16 v119, v[vgprGlobalReadOffsetB+0], s[sgprSrdB:sgprSrdB+3], 0, offen offset:2 // load one buffer value
s_waitcnt vmcnt(0)
v_or_b32 v[vgprG2LB+0+0], v[vgprG2LB+0+0], v119 // HasEccHalf: pack
/* g2l=0, load component 2 */
_buffer_load_d16_b16 v[vgprG2LB+0+1], v[vgprGlobalReadOffsetB+0], s[sgprSrdB:sgprSrdB+3], 0, offen offset:4 // load one buffer value
/* g2l=0, load component 3 */
_buffer_load_d16_hi_b16 v119, v[vgprGlobalReadOffsetB+0], s[sgprSrdB:sgprSrdB+3], 0, offen offset:6 // load one buffer value
s_waitcnt vmcnt(0)
v_or_b32 v[vgprG2LB+0+1], v[vgprG2LB+0+1], v119 // HasEccHalf: pack
	;; [unrolled: 6-line block ×4, first 2 shown]
/* g2l=4, load component 0 */
_buffer_load_d16_b16 v[vgprG2LB+4+0], v[vgprGlobalReadOffsetB+0], s[sgprSrdB:sgprSrdB+3], s[sgprScalarGlobalReadOffsetB+0], offen offset:0 // load one buffer value
/* g2l=4, load component 1 */
_buffer_load_d16_hi_b16 v119, v[vgprGlobalReadOffsetB+0], s[sgprSrdB:sgprSrdB+3], s[sgprScalarGlobalReadOffsetB+0], offen offset:2 // load one buffer value
s_waitcnt vmcnt(0)
v_or_b32 v[vgprG2LB+4+0], v[vgprG2LB+4+0], v119 // HasEccHalf: pack
/* g2l=4, load component 2 */
_buffer_load_d16_b16 v[vgprG2LB+4+1], v[vgprGlobalReadOffsetB+0], s[sgprSrdB:sgprSrdB+3], s[sgprScalarGlobalReadOffsetB+0], offen offset:4 // load one buffer value
/* g2l=4, load component 3 */
_buffer_load_d16_hi_b16 v119, v[vgprGlobalReadOffsetB+0], s[sgprSrdB:sgprSrdB+3], s[sgprScalarGlobalReadOffsetB+0], offen offset:6 // load one buffer value
s_waitcnt vmcnt(0)
v_or_b32 v[vgprG2LB+4+1], v[vgprG2LB+4+1], v119 // HasEccHalf: pack
	;; [unrolled: 6-line block ×12, first 2 shown]

s_waitcnt vmcnt(0)                                 // lgkmcnt=-1 vmcnt=02wait for global read

// Skip force waitcnt0
s_barrier //


/* Done global A/B reads */


	;; [unrolled: 1-line block ×4, first 2 shown]
/* local write a */

_ds_store_b32 v[vgprLocalWriteAddrA], v[vgprG2LA+0] offset:0 // lwoA_0_0_0_0 = (0*LSCA)*(MT0I+PAD) + (0*LSPA) = 0
_ds_store_b32 v[vgprLocalWriteAddrA], v[vgprG2LA+1] offset:1056 // lwoA_0_0_1_0 = (0*LSCA)*(MT0I+PAD) + (1*LSPA) = 1056
_ds_store_b32 v[vgprLocalWriteAddrA], v[vgprG2LA+2] offset:2112 // lwoA_0_0_2_0 = (0*LSCA)*(MT0I+PAD) + (2*LSPA) = 2112
_ds_store_b32 v[vgprLocalWriteAddrA], v[vgprG2LA+3] offset:3168 // lwoA_0_0_3_0 = (0*LSCA)*(MT0I+PAD) + (3*LSPA) = 3168
_ds_store_b32 v[vgprLocalWriteAddrA], v[vgprG2LA+4] offset:4224 // lwoA_0_0_4_0 = (0*LSCA)*(MT0I+PAD) + (4*LSPA) = 4224
_ds_store_b32 v[vgprLocalWriteAddrA], v[vgprG2LA+5] offset:5280 // lwoA_0_0_5_0 = (0*LSCA)*(MT0I+PAD) + (5*LSPA) = 5280
_ds_store_b32 v[vgprLocalWriteAddrA], v[vgprG2LA+6] offset:6336 // lwoA_0_0_6_0 = (0*LSCA)*(MT0I+PAD) + (6*LSPA) = 6336
_ds_store_b32 v[vgprLocalWriteAddrA], v[vgprG2LA+7] offset:7392 // lwoA_0_0_7_0 = (0*LSCA)*(MT0I+PAD) + (7*LSPA) = 7392
_ds_store_b32 v[vgprLocalWriteAddrA], v[vgprG2LA+8] offset:8448 // lwoA_0_0_8_0 = (0*LSCA)*(MT0I+PAD) + (8*LSPA) = 8448
_ds_store_b32 v[vgprLocalWriteAddrA], v[vgprG2LA+9] offset:9504 // lwoA_0_0_9_0 = (0*LSCA)*(MT0I+PAD) + (9*LSPA) = 9504
_ds_store_b32 v[vgprLocalWriteAddrA], v[vgprG2LA+10] offset:10560 // lwoA_0_0_10_0 = (0*LSCA)*(MT0I+PAD) + (10*LSPA) = 10560
_ds_store_b32 v[vgprLocalWriteAddrA], v[vgprG2LA+11] offset:11616 // lwoA_0_0_11_0 = (0*LSCA)*(MT0I+PAD) + (11*LSPA) = 11616
_ds_store_b32 v[vgprLocalWriteAddrA], v[vgprG2LA+12] offset:12672 // lwoA_0_0_12_0 = (0*LSCA)*(MT0I+PAD) + (12*LSPA) = 12672
_ds_store_b32 v[vgprLocalWriteAddrA], v[vgprG2LA+13] offset:13728 // lwoA_0_0_13_0 = (0*LSCA)*(MT0I+PAD) + (13*LSPA) = 13728
_ds_store_b32 v[vgprLocalWriteAddrA], v[vgprG2LA+14] offset:14784 // lwoA_0_0_14_0 = (0*LSCA)*(MT0I+PAD) + (14*LSPA) = 14784
_ds_store_b32 v[vgprLocalWriteAddrA], v[vgprG2LA+15] offset:15840 // lwoA_0_0_15_0 = (0*LSCA)*(MT0I+PAD) + (15*LSPA) = 15840


/* local write b */

_ds_store_b128 v[vgprLocalWriteAddrB], v[vgprG2LB+0:vgprG2LB+0+3] offset:0 // lwoB_0_0_0_0 = (0*LSCB)*(MT1J+PAD) + (0*LSPB) = 0
_ds_store_b128 v[vgprLocalWriteAddrB], v[vgprG2LB+4:vgprG2LB+4+3] offset:4608 // lwoB_0_0_1_0 = (0*LSCB)*(MT1J+PAD) + (1*LSPB) = 4608
_ds_store_b128 v[vgprLocalWriteAddrB], v[vgprG2LB+8:vgprG2LB+8+3] offset:9216 // lwoB_0_0_2_0 = (0*LSCB)*(MT1J+PAD) + (2*LSPB) = 9216
_ds_store_b128 v[vgprLocalWriteAddrB], v[vgprG2LB+12:vgprG2LB+12+3] offset:13824 // lwoB_0_0_3_0 = (0*LSCB)*(MT1J+PAD) + (3*LSPB) = 13824


/* Recalc local read offsets */


s_waitcnt lgkmcnt(0)                               // lgkmcnt=0 vmcnt=-15wait for local write

// Skip force waitcnt0
s_barrier //


/* local read reset offsets a */


	;; [unrolled: 1-line block ×3, first 2 shown]
/* local read reset offsets b */


	;; [unrolled: 1-line block ×3, first 2 shown]
/* local read init pointers a */


/* localReadInitPointers */


/* local read init pointers b */


/* localReadInitPointers */


/* tail loop: macs */

TailLoopBeginL_6:


/* tail loop unroll iter 0 */


/* local read a */

_ds_load_b64 v[vgprValuA_X0_I0+0:vgprValuA_X0_I0+0+1], v[vgprLocalReadAddrA] offset:0 // L -> Reg lro=0 swapByteOffset=0 ti=64 vIdx=0 rIdx=0 oIdx=0 buffer=0 iui=0
_ds_load_b64 v[vgprValuA_X0_I0+2:vgprValuA_X0_I0+2+1], v[vgprLocalReadAddrA] offset:64 // L -> Reg lro=0 swapByteOffset=0 ti=64 vIdx=0 rIdx=0 oIdx=0 buffer=0 iui=0
	;; [unrolled: 1-line block ×16, first 2 shown]


/* local read b */

_ds_load_b64 v[vgprValuB_X0_I0+0:vgprValuB_X0_I0+0+1], v[vgprLocalReadAddrB] offset:0 // L -> Reg lro=0 swapByteOffset=0 ti=64 vIdx=0 rIdx=0 oIdx=0 buffer=0 iui=0
_ds_load_b64 v[vgprValuB_X0_I0+2:vgprValuB_X0_I0+2+1], v[vgprLocalReadAddrB] offset:4608 // L -> Reg lro=0 swapByteOffset=0 ti=64 vIdx=1 rIdx=0 oIdx=0 buffer=0 iui=0
	;; [unrolled: 1-line block ×4, first 2 shown]


/* local read inc a */

s_mov_b32 s56, 0x20                                // inc
_v_add_co_u32 v[vgprLocalReadAddrA], vcc, s56, v[vgprLocalReadAddrA] // lrA += 32 (LSU*bpe)


/* local read inc b */

s_mov_b32 s56, 0x20                                // inc
_v_add_co_u32 v[vgprLocalReadAddrB], vcc, s56, v[vgprLocalReadAddrB] // lrB += 32 (LSU*bpe)

s_waitcnt lgkmcnt(0)                               // lgkmcnt=0 vmcnt=-14wait for local read


	;; [unrolled: 1-line block ×3, first 2 shown]
/* tail loop mfma iter 0: numReadsIterCoalescedA=1, numReadsIterCoalescedB=1 */
v_and_b32 v119, 63, v[vgprSerial]                  // v119 = v[vgprSerial] % 64
v_lshrrev_b32 v119, 4, v119                        // v119 = v119 / 16
v_lshlrev_b32 v119, 0x2, v119                      // v119 = v119 * 4
v_cmp_ge_i32 s[76:77], v119, s[sgprLoopCounterL]   // check K index >= Size L
v_cndmask_b32 v[vgprValuA_X0_I0+0+0+0+0], v[vgprValuA_X0_I0+0+0+0+0], 0x0, s[76:77] // set 0 if K_idx >= sizeL
v_cndmask_b32 v[vgprValuA_X0_I0+2+0+0+0], v[vgprValuA_X0_I0+2+0+0+0], 0x0, s[76:77] // set 0 if K_idx >= sizeL
	;; [unrolled: 1-line block ×16, first 2 shown]
v_cndmask_b32 v[vgprValuB_X0_I0+0+0+0+0], v[vgprValuB_X0_I0+0+0+0+0], 0x0, s[76:77] // set 0 if K_idx >= sizeL
v_cndmask_b32 v[vgprValuB_X0_I0+2+0+0+0], v[vgprValuB_X0_I0+2+0+0+0], 0x0, s[76:77] // set 0 if K_idx >= sizeL
	;; [unrolled: 1-line block ×4, first 2 shown]
v_cndmask_b32 v[vgprValuA_X0_I0+0+0+0+1], v[vgprValuA_X0_I0+0+0+0+1], 0x0, s[76:77] // set 0 if K_idx >= sizeL
v_cndmask_b32 v[vgprValuA_X0_I0+2+0+0+1], v[vgprValuA_X0_I0+2+0+0+1], 0x0, s[76:77] // set 0 if K_idx >= sizeL
	;; [unrolled: 1-line block ×16, first 2 shown]
v_cndmask_b32 v[vgprValuB_X0_I0+0+0+0+1], v[vgprValuB_X0_I0+0+0+0+1], 0x0, s[76:77] // set 0 if K_idx >= sizeL
v_cndmask_b32 v[vgprValuB_X0_I0+2+0+0+1], v[vgprValuB_X0_I0+2+0+0+1], 0x0, s[76:77] // set 0 if K_idx >= sizeL
v_cndmask_b32 v[vgprValuB_X0_I0+4+0+0+1], v[vgprValuB_X0_I0+4+0+0+1], 0x0, s[76:77] // set 0 if K_idx >= sizeL
v_cndmask_b32 v[vgprValuB_X0_I0+6+0+0+1], v[vgprValuB_X0_I0+6+0+0+1], 0x0, s[76:77] // set 0 if K_idx >= sizeL
_v_sub_u32 v119, s[sgprLoopCounterL], v119         // get distance between size and k index
v_cmp_lt_i32 s[76:77], v119, 4                     // set partial 0 if distance less than input per thread
s_and_b32 s78, s[sgprLoopCounterL], 3              // get inputs for edge thread
s_sub_u32 s78, 4, s78                              // use shift to fill 0 for outside element
s_lshl_b32 s78, s78, 4                             // use shift to fill 0 for outside element
v_mov_b32 v120, -1                                 // set 0xffffffff
v_mov_b32 v121, -1                                 // set 0xffffffff
v_lshrrev_b64 v[120:121], s78, v[120:121]          // rshift mask for partial k
v_cndmask_b32 v120, -1, v120, s[76:77]             // select shifted mask for partial k
v_cndmask_b32 v121, -1, v121, s[76:77]             // select shifted mask for partial k
v_and_b32 v[vgprValuA_X0_I0+0+0+0+0], v[vgprValuA_X0_I0+0+0+0+0], v120 // 
v_and_b32 v[vgprValuA_X0_I0+0+0+0+1], v[vgprValuA_X0_I0+0+0+0+1], v121 // 
	;; [unrolled: 1-line block ×32, first 2 shown]
v_and_b32 v[vgprValuB_X0_I0+0+0+0+0], v[vgprValuB_X0_I0+0+0+0+0], v120 // 
v_and_b32 v[vgprValuB_X0_I0+0+0+0+1], v[vgprValuB_X0_I0+0+0+0+1], v121 // 
	;; [unrolled: 1-line block ×8, first 2 shown]
s_nop 1
v_mfma_f32_16x16x16_bf16 a[0+0:3+0], v[vgprValuB_X0_I0+0+0+0:vgprValuB_X0_I0+0+0+0+1], v[vgprValuA_X0_I0+0+0+0:vgprValuA_X0_I0+0+0+0+1], a[0:3]
v_mfma_f32_16x16x16_bf16 a[4+0:7+0], v[vgprValuB_X0_I0+0+0+0:vgprValuB_X0_I0+0+0+0+1], v[vgprValuA_X0_I0+2+0+0:vgprValuA_X0_I0+2+0+0+1], a[4:7]
	;; [unrolled: 1-line block ×64, first 2 shown]


/* closeLoop loopL finalLoop=0 tailLoop=1 */
s_sub_i32 s[sgprLoopCounterL], s[sgprLoopCounterL], 0x10 // dec counterL (tailLoop)
s_add_u32 s[sgprOrigLoopCounter], s[sgprOrigLoopCounter], 0x10 // inc counterL
s_cmp_le_i32 s[sgprLoopCounterL], 0x0              // counterL<=0
s_cbranch_scc1 TailLoopEndL_7                      // exit LoopL


/* tail loop unroll iter 1 */


/* local read a */

_ds_load_b64 v[vgprValuA_X1_I0+0:vgprValuA_X1_I0+0+1], v[vgprLocalReadAddrA] offset:0 // L -> Reg lro=0 swapByteOffset=0 ti=64 vIdx=0 rIdx=0 oIdx=0 buffer=1 iui=0
_ds_load_b64 v[vgprValuA_X1_I0+2:vgprValuA_X1_I0+2+1], v[vgprLocalReadAddrA] offset:64 // L -> Reg lro=0 swapByteOffset=0 ti=64 vIdx=0 rIdx=0 oIdx=0 buffer=1 iui=0
	;; [unrolled: 1-line block ×16, first 2 shown]


/* local read b */

_ds_load_b64 v[vgprValuB_X1_I0+0:vgprValuB_X1_I0+0+1], v[vgprLocalReadAddrB] offset:0 // L -> Reg lro=0 swapByteOffset=0 ti=64 vIdx=0 rIdx=0 oIdx=0 buffer=1 iui=0
_ds_load_b64 v[vgprValuB_X1_I0+2:vgprValuB_X1_I0+2+1], v[vgprLocalReadAddrB] offset:4608 // L -> Reg lro=0 swapByteOffset=0 ti=64 vIdx=1 rIdx=0 oIdx=0 buffer=1 iui=0
	;; [unrolled: 1-line block ×4, first 2 shown]


/* local read inc a */

s_mov_b32 s56, 0x20                                // inc
_v_add_co_u32 v[vgprLocalReadAddrA], vcc, s56, v[vgprLocalReadAddrA] // lrA += 32 (LSU*bpe)


/* local read inc b */

s_mov_b32 s56, 0x20                                // inc
_v_add_co_u32 v[vgprLocalReadAddrB], vcc, s56, v[vgprLocalReadAddrB] // lrB += 32 (LSU*bpe)

s_waitcnt lgkmcnt(0)                               // lgkmcnt=0 vmcnt=-14wait for local read


	;; [unrolled: 1-line block ×3, first 2 shown]
/* tail loop mfma iter 1: numReadsIterCoalescedA=1, numReadsIterCoalescedB=1 */
v_and_b32 v119, 63, v[vgprSerial]                  // v119 = v[vgprSerial] % 64
v_lshrrev_b32 v119, 4, v119                        // v119 = v119 / 16
v_lshlrev_b32 v119, 0x2, v119                      // v119 = v119 * 4
v_cmp_ge_i32 s[76:77], v119, s[sgprLoopCounterL]   // check K index >= Size L
v_cndmask_b32 v[vgprValuA_X1_I0+0+0+0+0], v[vgprValuA_X1_I0+0+0+0+0], 0x0, s[76:77] // set 0 if K_idx >= sizeL
v_cndmask_b32 v[vgprValuA_X1_I0+2+0+0+0], v[vgprValuA_X1_I0+2+0+0+0], 0x0, s[76:77] // set 0 if K_idx >= sizeL
	;; [unrolled: 1-line block ×16, first 2 shown]
v_cndmask_b32 v[vgprValuB_X1_I0+0+0+0+0], v[vgprValuB_X1_I0+0+0+0+0], 0x0, s[76:77] // set 0 if K_idx >= sizeL
v_cndmask_b32 v[vgprValuB_X1_I0+2+0+0+0], v[vgprValuB_X1_I0+2+0+0+0], 0x0, s[76:77] // set 0 if K_idx >= sizeL
	;; [unrolled: 1-line block ×4, first 2 shown]
v_cndmask_b32 v[vgprValuA_X1_I0+0+0+0+1], v[vgprValuA_X1_I0+0+0+0+1], 0x0, s[76:77] // set 0 if K_idx >= sizeL
v_cndmask_b32 v[vgprValuA_X1_I0+2+0+0+1], v[vgprValuA_X1_I0+2+0+0+1], 0x0, s[76:77] // set 0 if K_idx >= sizeL
	;; [unrolled: 1-line block ×16, first 2 shown]
v_cndmask_b32 v[vgprValuB_X1_I0+0+0+0+1], v[vgprValuB_X1_I0+0+0+0+1], 0x0, s[76:77] // set 0 if K_idx >= sizeL
v_cndmask_b32 v[vgprValuB_X1_I0+2+0+0+1], v[vgprValuB_X1_I0+2+0+0+1], 0x0, s[76:77] // set 0 if K_idx >= sizeL
	;; [unrolled: 1-line block ×4, first 2 shown]
_v_sub_u32 v119, s[sgprLoopCounterL], v119         // get distance between size and k index
v_cmp_lt_i32 s[76:77], v119, 4                     // set partial 0 if distance less than input per thread
s_and_b32 s78, s[sgprLoopCounterL], 3              // get inputs for edge thread
s_sub_u32 s78, 4, s78                              // use shift to fill 0 for outside element
s_lshl_b32 s78, s78, 4                             // use shift to fill 0 for outside element
v_mov_b32 v120, -1                                 // set 0xffffffff
v_mov_b32 v121, -1                                 // set 0xffffffff
v_lshrrev_b64 v[120:121], s78, v[120:121]          // rshift mask for partial k
v_cndmask_b32 v120, -1, v120, s[76:77]             // select shifted mask for partial k
v_cndmask_b32 v121, -1, v121, s[76:77]             // select shifted mask for partial k
v_and_b32 v[vgprValuA_X1_I0+0+0+0+0], v[vgprValuA_X1_I0+0+0+0+0], v120 // 
v_and_b32 v[vgprValuA_X1_I0+0+0+0+1], v[vgprValuA_X1_I0+0+0+0+1], v121 // 
	;; [unrolled: 1-line block ×32, first 2 shown]
v_and_b32 v[vgprValuB_X1_I0+0+0+0+0], v[vgprValuB_X1_I0+0+0+0+0], v120 // 
v_and_b32 v[vgprValuB_X1_I0+0+0+0+1], v[vgprValuB_X1_I0+0+0+0+1], v121 // 
	;; [unrolled: 1-line block ×8, first 2 shown]
s_nop 1
v_mfma_f32_16x16x16_bf16 a[0+0:3+0], v[vgprValuB_X1_I0+0+0+0:vgprValuB_X1_I0+0+0+0+1], v[vgprValuA_X1_I0+0+0+0:vgprValuA_X1_I0+0+0+0+1], a[0:3]
v_mfma_f32_16x16x16_bf16 a[4+0:7+0], v[vgprValuB_X1_I0+0+0+0:vgprValuB_X1_I0+0+0+0+1], v[vgprValuA_X1_I0+2+0+0:vgprValuA_X1_I0+2+0+0+1], a[4:7]
	;; [unrolled: 1-line block ×64, first 2 shown]


/* closeLoop loopL finalLoop=1 tailLoop=1 */
s_sub_i32 s[sgprLoopCounterL], s[sgprLoopCounterL], 0x10 // dec counterL (tailLoop)
s_add_u32 s[sgprOrigLoopCounter], s[sgprOrigLoopCounter], 0x10 // inc counterL
s_cmp_le_i32 s[sgprLoopCounterL], 0x0              // counterL<=0
s_cbranch_scc0 TailLoopBeginL_6                    // restart LoopL
TailLoopEndL_7:

SkipTailLoopL_8:

Summation_End_30:
s_setprio 0                                        // optimization store
/* endSummation: add vgpr [0...116) to pool */
.set NumFullBlocks, UNDEF
.set WgmRemainder1, UNDEF
.set MagicNumberWgmRemainder1, UNDEF
.set ScalarGlobalReadOffsetA, UNDEF
.set ScalarGlobalReadOffsetB, UNDEF

/* Mapping of Acc register -> C Vgpr register */


	;; [unrolled: 1-line block ×3, first 2 shown]
/* not-LocalSplitU: global write indices */

/* computeStoreVgprs */
v_lshrrev_b32 v4, 6, v[vgprSerial]                 // v4 = v[vgprSerial] / 64
v_and_b32 v1, 63, v[vgprSerial]                    // v1 = v[vgprSerial] % 64
v_lshrrev_b32 v1, 4, v1                            // v1 = v1 / 16
v_lshlrev_b32 v1, 0x2, v1                          // thread0 * continuous_output
v_lshrrev_b32 v5, 0, v4                            // v5 = v4 / 1
v_mul_lo_u32 v5, 0x10, v5                          // wave coordination offset 1
_v_add_lshl_u32 v1, v5, v1, 0                      // coordination 1 = vwb *(wave_id1 + tid1)
v_mul_lo_u32 v2, v1, s[sgprStrideC1J]              //  offset 1
v_mul_lo_u32 v3, v1, s[sgprStrideD1J]              //  offset 1
v_and_b32 v5, 0, v4                                // v5 = v4 % 1
v_and_b32 v0, 15, v[vgprSerial]                    // v0 = v[vgprSerial] % 16
_v_add_lshl_u32 v0, v5, v0, 2                      // coordination 0 = vwa *(wave_id0 + tid0)
s_mul_i32 s53, 256, s[sgprWorkGroup0]              // wgp0 * MT0
_v_add_u32 v0, s53, v0                             // coord 0 = (tid0/MI_m)*4 + waveG0*MIB_m + MT0*SG0
s_mul_i32 s53, 256, s[sgprWorkGroup1]              // wgp1 * MT1
_v_add_u32 v1, s53, v1                             // coord 1 = (tid0%MI_m) + waveG1*MIB_n + MT1*SG1


/* not-LocalSplitU: global write */

s_cmpk_eq_u32 s[sgprBeta], 0x0                     // Beta == 0
s_cbranch_scc0 GW_Beta_45                          // Branch if Beta is not zero

s_and_b32 s54, 255, s[sgprSizeI]                   // s54 = s[sgprSizeI] % 256
s_add_u32 s55, -0x1, s[sgprNumWorkGroups0]         // 
s_cmp_ge_u32 s[sgprWorkGroup0], s55                // wg0 >= nwg0-1 ?
s_cselect_b32 s54, s54, 0                          // set rMT0
s_cmpk_gt_u32 s54, 0x0                             // rMT0 > 0
s_cbranch_scc1 GW_B0_E1_36                         // jump if edges required
s_and_b32 s54, 255, s[sgprSizeJ]                   // s54 = s[sgprSizeJ] % 256
s_add_u32 s55, -0x1, s[sgprNumWorkGroups1]         // 
s_cmp_ge_u32 s[sgprWorkGroup1], s55                // wg1 >= nwg1-1
s_cselect_b32 s54, s54, 0                          // set rMT1
s_cmpk_gt_u32 s54, 0x0                             // rMT1 > 0
s_cbranch_scc1 GW_B0_E1_36                         // jump if edges required
GW_B0_E0_33:

/* edge=0, allocate 2 sgpr. perBatchTmpS=2 perBatchMaskS=0 perElementMaskS=0 elementsPerBatch=60 */
/* optSingleColVgpr=1 optSharedColVgpr=0 optSGPRUsage=BufferLoad_Mask optSrdIncForRow=1 */
s_sleep 5 // optimization: sync and wait
s_barrier

/******************************************/
/* Global Write Alpha Batch #0 (d1,d0,vc1,vc0) = */
/*    (0,0,0,0:vw4); (0,1,0,0:vw4); (0,2,0,0:vw4); (0,3,0,0:vw4); (0,0,1,0:vw4); (0,1,1,0:vw4); (0,2,1,0:vw4); (0,3,1,0:vw4); (0,0,2,0:vw4); (0,1,2,0:vw4); (0,2,2,0:vw4); (0,3,2,0:vw4); (0,0,3,0:vw4); (0,1,3,0:vw4); (0,2,3,0:vw4); (0,3,3,0:vw4); (1,0,0,0:vw4); (1,1,0,0:vw4); (1,2,0,0:vw4); (1,3,0,0:vw4); (1,0,1,0:vw4); (1,1,1,0:vw4); (1,2,1,0:vw4); (1,3,1,0:vw4); (1,0,2,0:vw4); (1,1,2,0:vw4); (1,2,2,0:vw4); (1,3,2,0:vw4); (1,0,3,0:vw4); (1,1,3,0:vw4); (1,2,3,0:vw4); (1,3,3,0:vw4); (2,0,0,0:vw4); (2,1,0,0:vw4); (2,2,0,0:vw4); (2,3,0,0:vw4); (2,0,1,0:vw4); (2,1,1,0:vw4); (2,2,1,0:vw4); (2,3,1,0:vw4); (2,0,2,0:vw4); (2,1,2,0:vw4); (2,2,2,0:vw4); (2,3,2,0:vw4); (2,0,3,0:vw4); (2,1,3,0:vw4); (2,2,3,0:vw4); (2,3,3,0:vw4); (3,0,0,0:vw4); (3,1,0,0:vw4); (3,2,0,0:vw4); (3,3,0,0:vw4); (3,0,1,0:vw4); (3,1,1,0:vw4); (3,2,1,0:vw4); (3,3,1,0:vw4); (3,0,2,0:vw4); (3,1,2,0:vw4); (3,2,2,0:vw4); (3,3,2,0:vw4) */
/******************************************/

/* calc coords, apply mask, and issue loads (if necessary) */
/* (d1,vc1,d0,vc0)=(0,0,0,0) */
/* (d1,vc1,d0,vc0)=(0,0,1,0) */
	;; [unrolled: 1-line block ×60, first 2 shown]
_v_add_lshl_u32 v10, v3, v0, 0x1                   // optSingleColVgpr scaleToBpe: sharedAddrVgpr <- cinRowPtr + coord0, scaled by BPE. BSHERE:coord0=0, coord0Vgpr=0
v_accvgpr_read_b32 v[vgprValuC+12], acc0 // copy acc to vreg[0]
v_accvgpr_read_b32 v[vgprValuC+13], acc4 // copy acc to vreg[1]
v_accvgpr_read_b32 v[vgprValuC+14], acc8 // copy acc to vreg[2]
v_accvgpr_read_b32 v[vgprValuC+15], acc12 // copy acc to vreg[3]
v_accvgpr_read_b32 v[vgprValuC+16], acc16 // copy acc to vreg[4]
v_accvgpr_read_b32 v[vgprValuC+17], acc20 // copy acc to vreg[5]
v_accvgpr_read_b32 v[vgprValuC+18], acc24 // copy acc to vreg[6]
v_accvgpr_read_b32 v[vgprValuC+19], acc28 // copy acc to vreg[7]
v_accvgpr_read_b32 v[vgprValuC+20], acc32 // copy acc to vreg[8]
v_accvgpr_read_b32 v[vgprValuC+21], acc36 // copy acc to vreg[9]
v_accvgpr_read_b32 v[vgprValuC+22], acc40 // copy acc to vreg[10]
v_accvgpr_read_b32 v[vgprValuC+23], acc44 // copy acc to vreg[11]
v_accvgpr_read_b32 v[vgprValuC+24], acc48 // copy acc to vreg[12]
v_accvgpr_read_b32 v[vgprValuC+25], acc52 // copy acc to vreg[13]
v_accvgpr_read_b32 v[vgprValuC+26], acc56 // copy acc to vreg[14]
v_accvgpr_read_b32 v[vgprValuC+27], acc60 // copy acc to vreg[15]
v_accvgpr_read_b32 v[vgprValuC+28], acc1 // copy acc to vreg[16]
v_accvgpr_read_b32 v[vgprValuC+29], acc5 // copy acc to vreg[17]
v_accvgpr_read_b32 v[vgprValuC+30], acc9 // copy acc to vreg[18]
v_accvgpr_read_b32 v[vgprValuC+31], acc13 // copy acc to vreg[19]
v_accvgpr_read_b32 v[vgprValuC+32], acc17 // copy acc to vreg[20]
v_accvgpr_read_b32 v[vgprValuC+33], acc21 // copy acc to vreg[21]
v_accvgpr_read_b32 v[vgprValuC+34], acc25 // copy acc to vreg[22]
v_accvgpr_read_b32 v[vgprValuC+35], acc29 // copy acc to vreg[23]
v_accvgpr_read_b32 v[vgprValuC+36], acc33 // copy acc to vreg[24]
v_accvgpr_read_b32 v[vgprValuC+37], acc37 // copy acc to vreg[25]
v_accvgpr_read_b32 v[vgprValuC+38], acc41 // copy acc to vreg[26]
v_accvgpr_read_b32 v[vgprValuC+39], acc45 // copy acc to vreg[27]
v_accvgpr_read_b32 v[vgprValuC+40], acc49 // copy acc to vreg[28]
v_accvgpr_read_b32 v[vgprValuC+41], acc53 // copy acc to vreg[29]
v_accvgpr_read_b32 v[vgprValuC+42], acc57 // copy acc to vreg[30]
v_accvgpr_read_b32 v[vgprValuC+43], acc61 // copy acc to vreg[31]
v_accvgpr_read_b32 v[vgprValuC+44], acc2 // copy acc to vreg[32]
v_accvgpr_read_b32 v[vgprValuC+45], acc6 // copy acc to vreg[33]
v_accvgpr_read_b32 v[vgprValuC+46], acc10 // copy acc to vreg[34]
v_accvgpr_read_b32 v[vgprValuC+47], acc14 // copy acc to vreg[35]
v_accvgpr_read_b32 v[vgprValuC+48], acc18 // copy acc to vreg[36]
v_accvgpr_read_b32 v[vgprValuC+49], acc22 // copy acc to vreg[37]
v_accvgpr_read_b32 v[vgprValuC+50], acc26 // copy acc to vreg[38]
v_accvgpr_read_b32 v[vgprValuC+51], acc30 // copy acc to vreg[39]
v_accvgpr_read_b32 v[vgprValuC+52], acc34 // copy acc to vreg[40]
v_accvgpr_read_b32 v[vgprValuC+53], acc38 // copy acc to vreg[41]
v_accvgpr_read_b32 v[vgprValuC+54], acc42 // copy acc to vreg[42]
v_accvgpr_read_b32 v[vgprValuC+55], acc46 // copy acc to vreg[43]
v_accvgpr_read_b32 v[vgprValuC+56], acc50 // copy acc to vreg[44]
v_accvgpr_read_b32 v[vgprValuC+57], acc54 // copy acc to vreg[45]
v_accvgpr_read_b32 v[vgprValuC+58], acc58 // copy acc to vreg[46]
v_accvgpr_read_b32 v[vgprValuC+59], acc62 // copy acc to vreg[47]
v_accvgpr_read_b32 v[vgprValuC+60], acc3 // copy acc to vreg[48]
v_accvgpr_read_b32 v[vgprValuC+61], acc7 // copy acc to vreg[49]
v_accvgpr_read_b32 v[vgprValuC+62], acc11 // copy acc to vreg[50]
v_accvgpr_read_b32 v[vgprValuC+63], acc15 // copy acc to vreg[51]
v_accvgpr_read_b32 v[vgprValuC+64], acc19 // copy acc to vreg[52]
v_accvgpr_read_b32 v[vgprValuC+65], acc23 // copy acc to vreg[53]
v_accvgpr_read_b32 v[vgprValuC+66], acc27 // copy acc to vreg[54]
v_accvgpr_read_b32 v[vgprValuC+67], acc31 // copy acc to vreg[55]
v_accvgpr_read_b32 v[vgprValuC+68], acc35 // copy acc to vreg[56]
v_accvgpr_read_b32 v[vgprValuC+69], acc39 // copy acc to vreg[57]
v_accvgpr_read_b32 v[vgprValuC+70], acc43 // copy acc to vreg[58]
v_accvgpr_read_b32 v[vgprValuC+71], acc47 // copy acc to vreg[59]
v_accvgpr_read_b32 v[vgprValuC+72], acc51 // copy acc to vreg[60]
v_accvgpr_read_b32 v[vgprValuC+73], acc55 // copy acc to vreg[61]
v_accvgpr_read_b32 v[vgprValuC+74], acc59 // copy acc to vreg[62]
v_accvgpr_read_b32 v[vgprValuC+75], acc63 // copy acc to vreg[63]
v_accvgpr_read_b32 v[vgprValuC+76], acc64 // copy acc to vreg[64]
v_accvgpr_read_b32 v[vgprValuC+77], acc68 // copy acc to vreg[65]
v_accvgpr_read_b32 v[vgprValuC+78], acc72 // copy acc to vreg[66]
v_accvgpr_read_b32 v[vgprValuC+79], acc76 // copy acc to vreg[67]
v_accvgpr_read_b32 v[vgprValuC+80], acc80 // copy acc to vreg[68]
v_accvgpr_read_b32 v[vgprValuC+81], acc84 // copy acc to vreg[69]
v_accvgpr_read_b32 v[vgprValuC+82], acc88 // copy acc to vreg[70]
v_accvgpr_read_b32 v[vgprValuC+83], acc92 // copy acc to vreg[71]
v_accvgpr_read_b32 v[vgprValuC+84], acc96 // copy acc to vreg[72]
v_accvgpr_read_b32 v[vgprValuC+85], acc100 // copy acc to vreg[73]
v_accvgpr_read_b32 v[vgprValuC+86], acc104 // copy acc to vreg[74]
v_accvgpr_read_b32 v[vgprValuC+87], acc108 // copy acc to vreg[75]
v_accvgpr_read_b32 v[vgprValuC+88], acc112 // copy acc to vreg[76]
v_accvgpr_read_b32 v[vgprValuC+89], acc116 // copy acc to vreg[77]
v_accvgpr_read_b32 v[vgprValuC+90], acc120 // copy acc to vreg[78]
v_accvgpr_read_b32 v[vgprValuC+91], acc124 // copy acc to vreg[79]
v_accvgpr_read_b32 v[vgprValuC+92], acc65 // copy acc to vreg[80]
v_accvgpr_read_b32 v[vgprValuC+93], acc69 // copy acc to vreg[81]
v_accvgpr_read_b32 v[vgprValuC+94], acc73 // copy acc to vreg[82]
v_accvgpr_read_b32 v[vgprValuC+95], acc77 // copy acc to vreg[83]
v_accvgpr_read_b32 v[vgprValuC+96], acc81 // copy acc to vreg[84]
v_accvgpr_read_b32 v[vgprValuC+97], acc85 // copy acc to vreg[85]
v_accvgpr_read_b32 v[vgprValuC+98], acc89 // copy acc to vreg[86]
v_accvgpr_read_b32 v[vgprValuC+99], acc93 // copy acc to vreg[87]
v_accvgpr_read_b32 v[vgprValuC+100], acc97 // copy acc to vreg[88]
v_accvgpr_read_b32 v[vgprValuC+101], acc101 // copy acc to vreg[89]
v_accvgpr_read_b32 v[vgprValuC+102], acc105 // copy acc to vreg[90]
v_accvgpr_read_b32 v[vgprValuC+103], acc109 // copy acc to vreg[91]
v_accvgpr_read_b32 v[vgprValuC+104], acc113 // copy acc to vreg[92]
v_accvgpr_read_b32 v[vgprValuC+105], acc117 // copy acc to vreg[93]
v_accvgpr_read_b32 v[vgprValuC+106], acc121 // copy acc to vreg[94]
v_accvgpr_read_b32 v[vgprValuC+107], acc125 // copy acc to vreg[95]
v_accvgpr_read_b32 v[vgprValuC+108], acc66 // copy acc to vreg[96]
v_accvgpr_read_b32 v[vgprValuC+109], acc70 // copy acc to vreg[97]
v_accvgpr_read_b32 v[vgprValuC+110], acc74 // copy acc to vreg[98]
v_accvgpr_read_b32 v[vgprValuC+111], acc78 // copy acc to vreg[99]
v_accvgpr_read_b32 v[vgprValuC+112], acc82 // copy acc to vreg[100]
v_accvgpr_read_b32 v[vgprValuC+113], acc86 // copy acc to vreg[101]
v_accvgpr_read_b32 v[vgprValuC+114], acc90 // copy acc to vreg[102]
v_accvgpr_read_b32 v[vgprValuC+115], acc94 // copy acc to vreg[103]
v_accvgpr_read_b32 v[vgprValuC+120], acc98 // copy acc to vreg[104]
v_accvgpr_read_b32 v[vgprValuC+121], acc102 // copy acc to vreg[105]
v_accvgpr_read_b32 v[vgprValuC+122], acc106 // copy acc to vreg[106]
v_accvgpr_read_b32 v[vgprValuC+123], acc110 // copy acc to vreg[107]
v_accvgpr_read_b32 v[vgprValuC+124], acc114 // copy acc to vreg[108]
v_accvgpr_read_b32 v[vgprValuC+125], acc118 // copy acc to vreg[109]
v_accvgpr_read_b32 v[vgprValuC+126], acc122 // copy acc to vreg[110]
v_accvgpr_read_b32 v[vgprValuC+127], acc126 // copy acc to vreg[111]
v_accvgpr_read_b32 v[vgprValuC+128], acc67 // copy acc to vreg[112]
v_accvgpr_read_b32 v[vgprValuC+129], acc71 // copy acc to vreg[113]
v_accvgpr_read_b32 v[vgprValuC+130], acc75 // copy acc to vreg[114]
v_accvgpr_read_b32 v[vgprValuC+131], acc79 // copy acc to vreg[115]
v_accvgpr_read_b32 v[vgprValuC+132], acc83 // copy acc to vreg[116]
v_accvgpr_read_b32 v[vgprValuC+133], acc87 // copy acc to vreg[117]
v_accvgpr_read_b32 v[vgprValuC+134], acc91 // copy acc to vreg[118]
v_accvgpr_read_b32 v[vgprValuC+135], acc95 // copy acc to vreg[119]
v_accvgpr_read_b32 v[vgprValuC+136], acc99 // copy acc to vreg[120]
v_accvgpr_read_b32 v[vgprValuC+137], acc103 // copy acc to vreg[121]
v_accvgpr_read_b32 v[vgprValuC+138], acc107 // copy acc to vreg[122]
v_accvgpr_read_b32 v[vgprValuC+139], acc111 // copy acc to vreg[123]
v_accvgpr_read_b32 v[vgprValuC+140], acc115 // copy acc to vreg[124]
v_accvgpr_read_b32 v[vgprValuC+141], acc119 // copy acc to vreg[125]
v_accvgpr_read_b32 v[vgprValuC+142], acc123 // copy acc to vreg[126]
v_accvgpr_read_b32 v[vgprValuC+143], acc127 // copy acc to vreg[127]
v_accvgpr_read_b32 v[vgprValuC+144], acc128 // copy acc to vreg[128]
v_accvgpr_read_b32 v[vgprValuC+145], acc132 // copy acc to vreg[129]
v_accvgpr_read_b32 v[vgprValuC+146], acc136 // copy acc to vreg[130]
v_accvgpr_read_b32 v[vgprValuC+147], acc140 // copy acc to vreg[131]
v_accvgpr_read_b32 v[vgprValuC+148], acc144 // copy acc to vreg[132]
v_accvgpr_read_b32 v[vgprValuC+149], acc148 // copy acc to vreg[133]
v_accvgpr_read_b32 v[vgprValuC+150], acc152 // copy acc to vreg[134]
v_accvgpr_read_b32 v[vgprValuC+151], acc156 // copy acc to vreg[135]
v_accvgpr_read_b32 v[vgprValuC+152], acc160 // copy acc to vreg[136]
v_accvgpr_read_b32 v[vgprValuC+153], acc164 // copy acc to vreg[137]
v_accvgpr_read_b32 v[vgprValuC+154], acc168 // copy acc to vreg[138]
v_accvgpr_read_b32 v[vgprValuC+155], acc172 // copy acc to vreg[139]
v_accvgpr_read_b32 v[vgprValuC+156], acc176 // copy acc to vreg[140]
v_accvgpr_read_b32 v[vgprValuC+157], acc180 // copy acc to vreg[141]
v_accvgpr_read_b32 v[vgprValuC+158], acc184 // copy acc to vreg[142]
v_accvgpr_read_b32 v[vgprValuC+159], acc188 // copy acc to vreg[143]
v_accvgpr_read_b32 v[vgprValuC+160], acc129 // copy acc to vreg[144]
v_accvgpr_read_b32 v[vgprValuC+161], acc133 // copy acc to vreg[145]
v_accvgpr_read_b32 v[vgprValuC+162], acc137 // copy acc to vreg[146]
v_accvgpr_read_b32 v[vgprValuC+163], acc141 // copy acc to vreg[147]
v_accvgpr_read_b32 v[vgprValuC+164], acc145 // copy acc to vreg[148]
v_accvgpr_read_b32 v[vgprValuC+165], acc149 // copy acc to vreg[149]
v_accvgpr_read_b32 v[vgprValuC+166], acc153 // copy acc to vreg[150]
v_accvgpr_read_b32 v[vgprValuC+167], acc157 // copy acc to vreg[151]
v_accvgpr_read_b32 v[vgprValuC+168], acc161 // copy acc to vreg[152]
v_accvgpr_read_b32 v[vgprValuC+169], acc165 // copy acc to vreg[153]
v_accvgpr_read_b32 v[vgprValuC+170], acc169 // copy acc to vreg[154]
v_accvgpr_read_b32 v[vgprValuC+171], acc173 // copy acc to vreg[155]
v_accvgpr_read_b32 v[vgprValuC+172], acc177 // copy acc to vreg[156]
v_accvgpr_read_b32 v[vgprValuC+173], acc181 // copy acc to vreg[157]
v_accvgpr_read_b32 v[vgprValuC+174], acc185 // copy acc to vreg[158]
v_accvgpr_read_b32 v[vgprValuC+175], acc189 // copy acc to vreg[159]
v_accvgpr_read_b32 v[vgprValuC+176], acc130 // copy acc to vreg[160]
v_accvgpr_read_b32 v[vgprValuC+177], acc134 // copy acc to vreg[161]
v_accvgpr_read_b32 v[vgprValuC+178], acc138 // copy acc to vreg[162]
v_accvgpr_read_b32 v[vgprValuC+179], acc142 // copy acc to vreg[163]
v_accvgpr_read_b32 v[vgprValuC+180], acc146 // copy acc to vreg[164]
v_accvgpr_read_b32 v[vgprValuC+181], acc150 // copy acc to vreg[165]
v_accvgpr_read_b32 v[vgprValuC+182], acc154 // copy acc to vreg[166]
v_accvgpr_read_b32 v[vgprValuC+183], acc158 // copy acc to vreg[167]
v_accvgpr_read_b32 v[vgprValuC+184], acc162 // copy acc to vreg[168]
v_accvgpr_read_b32 v[vgprValuC+185], acc166 // copy acc to vreg[169]
v_accvgpr_read_b32 v[vgprValuC+186], acc170 // copy acc to vreg[170]
v_accvgpr_read_b32 v[vgprValuC+187], acc174 // copy acc to vreg[171]
v_accvgpr_read_b32 v[vgprValuC+188], acc178 // copy acc to vreg[172]
v_accvgpr_read_b32 v[vgprValuC+189], acc182 // copy acc to vreg[173]
v_accvgpr_read_b32 v[vgprValuC+190], acc186 // copy acc to vreg[174]
v_accvgpr_read_b32 v[vgprValuC+191], acc190 // copy acc to vreg[175]
v_accvgpr_read_b32 v[vgprValuC+192], acc131 // copy acc to vreg[176]
v_accvgpr_read_b32 v[vgprValuC+193], acc135 // copy acc to vreg[177]
v_accvgpr_read_b32 v[vgprValuC+194], acc139 // copy acc to vreg[178]
v_accvgpr_read_b32 v[vgprValuC+195], acc143 // copy acc to vreg[179]
v_accvgpr_read_b32 v[vgprValuC+196], acc147 // copy acc to vreg[180]
v_accvgpr_read_b32 v[vgprValuC+197], acc151 // copy acc to vreg[181]
v_accvgpr_read_b32 v[vgprValuC+198], acc155 // copy acc to vreg[182]
v_accvgpr_read_b32 v[vgprValuC+199], acc159 // copy acc to vreg[183]
v_accvgpr_read_b32 v[vgprValuC+200], acc163 // copy acc to vreg[184]
v_accvgpr_read_b32 v[vgprValuC+201], acc167 // copy acc to vreg[185]
v_accvgpr_read_b32 v[vgprValuC+202], acc171 // copy acc to vreg[186]
v_accvgpr_read_b32 v[vgprValuC+203], acc175 // copy acc to vreg[187]
v_accvgpr_read_b32 v[vgprValuC+204], acc179 // copy acc to vreg[188]
v_accvgpr_read_b32 v[vgprValuC+205], acc183 // copy acc to vreg[189]
v_accvgpr_read_b32 v[vgprValuC+206], acc187 // copy acc to vreg[190]
v_accvgpr_read_b32 v[vgprValuC+207], acc191 // copy acc to vreg[191]
v_accvgpr_read_b32 v[vgprValuC+208], acc192 // copy acc to vreg[192]
v_accvgpr_read_b32 v[vgprValuC+209], acc196 // copy acc to vreg[193]
v_accvgpr_read_b32 v[vgprValuC+210], acc200 // copy acc to vreg[194]
v_accvgpr_read_b32 v[vgprValuC+211], acc204 // copy acc to vreg[195]
v_accvgpr_read_b32 v[vgprValuC+212], acc208 // copy acc to vreg[196]
v_accvgpr_read_b32 v[vgprValuC+213], acc212 // copy acc to vreg[197]
v_accvgpr_read_b32 v[vgprValuC+214], acc216 // copy acc to vreg[198]
v_accvgpr_read_b32 v[vgprValuC+215], acc220 // copy acc to vreg[199]
v_accvgpr_read_b32 v[vgprValuC+216], acc224 // copy acc to vreg[200]
v_accvgpr_read_b32 v[vgprValuC+217], acc228 // copy acc to vreg[201]
v_accvgpr_read_b32 v[vgprValuC+218], acc232 // copy acc to vreg[202]
v_accvgpr_read_b32 v[vgprValuC+219], acc236 // copy acc to vreg[203]
v_accvgpr_read_b32 v[vgprValuC+220], acc240 // copy acc to vreg[204]
v_accvgpr_read_b32 v[vgprValuC+221], acc244 // copy acc to vreg[205]
v_accvgpr_read_b32 v[vgprValuC+222], acc248 // copy acc to vreg[206]
v_accvgpr_read_b32 v[vgprValuC+223], acc252 // copy acc to vreg[207]
v_accvgpr_read_b32 v[vgprValuC+224], acc193 // copy acc to vreg[208]
v_accvgpr_read_b32 v[vgprValuC+225], acc197 // copy acc to vreg[209]
v_accvgpr_read_b32 v[vgprValuC+226], acc201 // copy acc to vreg[210]
v_accvgpr_read_b32 v[vgprValuC+227], acc205 // copy acc to vreg[211]
v_accvgpr_read_b32 v[vgprValuC+228], acc209 // copy acc to vreg[212]
v_accvgpr_read_b32 v[vgprValuC+229], acc213 // copy acc to vreg[213]
v_accvgpr_read_b32 v[vgprValuC+230], acc217 // copy acc to vreg[214]
v_accvgpr_read_b32 v[vgprValuC+231], acc221 // copy acc to vreg[215]
v_accvgpr_read_b32 v[vgprValuC+232], acc225 // copy acc to vreg[216]
v_accvgpr_read_b32 v[vgprValuC+233], acc229 // copy acc to vreg[217]
v_accvgpr_read_b32 v[vgprValuC+234], acc233 // copy acc to vreg[218]
v_accvgpr_read_b32 v[vgprValuC+235], acc237 // copy acc to vreg[219]
v_accvgpr_read_b32 v[vgprValuC+236], acc241 // copy acc to vreg[220]
v_accvgpr_read_b32 v[vgprValuC+237], acc245 // copy acc to vreg[221]
v_accvgpr_read_b32 v[vgprValuC+238], acc249 // copy acc to vreg[222]
v_accvgpr_read_b32 v[vgprValuC+239], acc253 // copy acc to vreg[223]
v_accvgpr_read_b32 v[vgprValuC+240], acc194 // copy acc to vreg[224]
v_accvgpr_read_b32 v[vgprValuC+241], acc198 // copy acc to vreg[225]
v_accvgpr_read_b32 v[vgprValuC+242], acc202 // copy acc to vreg[226]
v_accvgpr_read_b32 v[vgprValuC+243], acc206 // copy acc to vreg[227]
v_accvgpr_read_b32 v[vgprValuC+244], acc210 // copy acc to vreg[228]
v_accvgpr_read_b32 v[vgprValuC+245], acc214 // copy acc to vreg[229]
v_accvgpr_read_b32 v[vgprValuC+246], acc218 // copy acc to vreg[230]
v_accvgpr_read_b32 v[vgprValuC+247], acc222 // copy acc to vreg[231]
v_accvgpr_read_b32 v[vgprValuC+248], acc226 // copy acc to vreg[232]
v_accvgpr_read_b32 v[vgprValuC+249], acc230 // copy acc to vreg[233]
v_accvgpr_read_b32 v[vgprValuC+250], acc234 // copy acc to vreg[234]
v_accvgpr_read_b32 v[vgprValuC+251], acc238 // copy acc to vreg[235]
v_accvgpr_read_b32 v[vgprValuC+252], acc242 // copy acc to vreg[236]
v_accvgpr_read_b32 v[vgprValuC+253], acc246 // copy acc to vreg[237]
v_accvgpr_read_b32 v[vgprValuC+254], acc250 // copy acc to vreg[238]
v_accvgpr_read_b32 v[vgprValuC+255], acc254 // copy acc to vreg[239]
s_nop 1                                            // 2 wait states required before reading vgpr

/* rC *= alpha batchElements=[(0, 0, 0, 0), (0, 1, 0, 0), (0, 2, 0, 0), (0, 3, 0, 0), (0, 0, 1, 0), (0, 1, 1, 0), (0, 2, 1, 0), (0, 3, 1, 0), (0, 0, 2, 0), (0, 1, 2, 0), (0, 2, 2, 0), (0, 3, 2, 0), (0, 0, 3, 0), (0, 1, 3, 0), (0, 2, 3, 0), (0, 3, 3, 0), (1, 0, 0, 0), (1, 1, 0, 0), (1, 2, 0, 0), (1, 3, 0, 0), (1, 0, 1, 0), (1, 1, 1, 0), (1, 2, 1, 0), (1, 3, 1, 0), (1, 0, 2, 0), (1, 1, 2, 0), (1, 2, 2, 0), (1, 3, 2, 0), (1, 0, 3, 0), (1, 1, 3, 0), (1, 2, 3, 0), (1, 3, 3, 0), (2, 0, 0, 0), (2, 1, 0, 0), (2, 2, 0, 0), (2, 3, 0, 0), (2, 0, 1, 0), (2, 1, 1, 0), (2, 2, 1, 0), (2, 3, 1, 0), (2, 0, 2, 0), (2, 1, 2, 0), (2, 2, 2, 0), (2, 3, 2, 0), (2, 0, 3, 0), (2, 1, 3, 0), (2, 2, 3, 0), (2, 3, 3, 0), (3, 0, 0, 0), (3, 1, 0, 0), (3, 2, 0, 0), (3, 3, 0, 0), (3, 0, 1, 0), (3, 1, 1, 0), (3, 2, 1, 0), (3, 3, 1, 0), (3, 0, 2, 0), (3, 1, 2, 0), (3, 2, 2, 0), (3, 3, 2, 0)] */
v_mul_f32 v[vgprValuC+12], s[sgprAlpha], v[vgprValuC+12] // *= alpha
v_mul_f32 v[vgprValuC+13], s[sgprAlpha], v[vgprValuC+13] // *= alpha
v_mul_f32 v[vgprValuC+14], s[sgprAlpha], v[vgprValuC+14] // *= alpha
v_mul_f32 v[vgprValuC+15], s[sgprAlpha], v[vgprValuC+15] // *= alpha
v_mul_f32 v[vgprValuC+16], s[sgprAlpha], v[vgprValuC+16] // *= alpha
v_mul_f32 v[vgprValuC+17], s[sgprAlpha], v[vgprValuC+17] // *= alpha
v_mul_f32 v[vgprValuC+18], s[sgprAlpha], v[vgprValuC+18] // *= alpha
v_mul_f32 v[vgprValuC+19], s[sgprAlpha], v[vgprValuC+19] // *= alpha
v_mul_f32 v[vgprValuC+20], s[sgprAlpha], v[vgprValuC+20] // *= alpha
v_mul_f32 v[vgprValuC+21], s[sgprAlpha], v[vgprValuC+21] // *= alpha
v_mul_f32 v[vgprValuC+22], s[sgprAlpha], v[vgprValuC+22] // *= alpha
v_mul_f32 v[vgprValuC+23], s[sgprAlpha], v[vgprValuC+23] // *= alpha
v_mul_f32 v[vgprValuC+24], s[sgprAlpha], v[vgprValuC+24] // *= alpha
v_mul_f32 v[vgprValuC+25], s[sgprAlpha], v[vgprValuC+25] // *= alpha
v_mul_f32 v[vgprValuC+26], s[sgprAlpha], v[vgprValuC+26] // *= alpha
v_mul_f32 v[vgprValuC+27], s[sgprAlpha], v[vgprValuC+27] // *= alpha
v_mul_f32 v[vgprValuC+28], s[sgprAlpha], v[vgprValuC+28] // *= alpha
v_mul_f32 v[vgprValuC+29], s[sgprAlpha], v[vgprValuC+29] // *= alpha
v_mul_f32 v[vgprValuC+30], s[sgprAlpha], v[vgprValuC+30] // *= alpha
v_mul_f32 v[vgprValuC+31], s[sgprAlpha], v[vgprValuC+31] // *= alpha
v_mul_f32 v[vgprValuC+32], s[sgprAlpha], v[vgprValuC+32] // *= alpha
v_mul_f32 v[vgprValuC+33], s[sgprAlpha], v[vgprValuC+33] // *= alpha
v_mul_f32 v[vgprValuC+34], s[sgprAlpha], v[vgprValuC+34] // *= alpha
v_mul_f32 v[vgprValuC+35], s[sgprAlpha], v[vgprValuC+35] // *= alpha
v_mul_f32 v[vgprValuC+36], s[sgprAlpha], v[vgprValuC+36] // *= alpha
v_mul_f32 v[vgprValuC+37], s[sgprAlpha], v[vgprValuC+37] // *= alpha
v_mul_f32 v[vgprValuC+38], s[sgprAlpha], v[vgprValuC+38] // *= alpha
v_mul_f32 v[vgprValuC+39], s[sgprAlpha], v[vgprValuC+39] // *= alpha
v_mul_f32 v[vgprValuC+40], s[sgprAlpha], v[vgprValuC+40] // *= alpha
v_mul_f32 v[vgprValuC+41], s[sgprAlpha], v[vgprValuC+41] // *= alpha
v_mul_f32 v[vgprValuC+42], s[sgprAlpha], v[vgprValuC+42] // *= alpha
v_mul_f32 v[vgprValuC+43], s[sgprAlpha], v[vgprValuC+43] // *= alpha
v_mul_f32 v[vgprValuC+44], s[sgprAlpha], v[vgprValuC+44] // *= alpha
v_mul_f32 v[vgprValuC+45], s[sgprAlpha], v[vgprValuC+45] // *= alpha
v_mul_f32 v[vgprValuC+46], s[sgprAlpha], v[vgprValuC+46] // *= alpha
v_mul_f32 v[vgprValuC+47], s[sgprAlpha], v[vgprValuC+47] // *= alpha
v_mul_f32 v[vgprValuC+48], s[sgprAlpha], v[vgprValuC+48] // *= alpha
v_mul_f32 v[vgprValuC+49], s[sgprAlpha], v[vgprValuC+49] // *= alpha
v_mul_f32 v[vgprValuC+50], s[sgprAlpha], v[vgprValuC+50] // *= alpha
v_mul_f32 v[vgprValuC+51], s[sgprAlpha], v[vgprValuC+51] // *= alpha
v_mul_f32 v[vgprValuC+52], s[sgprAlpha], v[vgprValuC+52] // *= alpha
v_mul_f32 v[vgprValuC+53], s[sgprAlpha], v[vgprValuC+53] // *= alpha
v_mul_f32 v[vgprValuC+54], s[sgprAlpha], v[vgprValuC+54] // *= alpha
v_mul_f32 v[vgprValuC+55], s[sgprAlpha], v[vgprValuC+55] // *= alpha
v_mul_f32 v[vgprValuC+56], s[sgprAlpha], v[vgprValuC+56] // *= alpha
v_mul_f32 v[vgprValuC+57], s[sgprAlpha], v[vgprValuC+57] // *= alpha
v_mul_f32 v[vgprValuC+58], s[sgprAlpha], v[vgprValuC+58] // *= alpha
v_mul_f32 v[vgprValuC+59], s[sgprAlpha], v[vgprValuC+59] // *= alpha
v_mul_f32 v[vgprValuC+60], s[sgprAlpha], v[vgprValuC+60] // *= alpha
v_mul_f32 v[vgprValuC+61], s[sgprAlpha], v[vgprValuC+61] // *= alpha
v_mul_f32 v[vgprValuC+62], s[sgprAlpha], v[vgprValuC+62] // *= alpha
v_mul_f32 v[vgprValuC+63], s[sgprAlpha], v[vgprValuC+63] // *= alpha
v_mul_f32 v[vgprValuC+64], s[sgprAlpha], v[vgprValuC+64] // *= alpha
v_mul_f32 v[vgprValuC+65], s[sgprAlpha], v[vgprValuC+65] // *= alpha
v_mul_f32 v[vgprValuC+66], s[sgprAlpha], v[vgprValuC+66] // *= alpha
v_mul_f32 v[vgprValuC+67], s[sgprAlpha], v[vgprValuC+67] // *= alpha
v_mul_f32 v[vgprValuC+68], s[sgprAlpha], v[vgprValuC+68] // *= alpha
v_mul_f32 v[vgprValuC+69], s[sgprAlpha], v[vgprValuC+69] // *= alpha
v_mul_f32 v[vgprValuC+70], s[sgprAlpha], v[vgprValuC+70] // *= alpha
v_mul_f32 v[vgprValuC+71], s[sgprAlpha], v[vgprValuC+71] // *= alpha
v_mul_f32 v[vgprValuC+72], s[sgprAlpha], v[vgprValuC+72] // *= alpha
v_mul_f32 v[vgprValuC+73], s[sgprAlpha], v[vgprValuC+73] // *= alpha
v_mul_f32 v[vgprValuC+74], s[sgprAlpha], v[vgprValuC+74] // *= alpha
v_mul_f32 v[vgprValuC+75], s[sgprAlpha], v[vgprValuC+75] // *= alpha
v_mul_f32 v[vgprValuC+76], s[sgprAlpha], v[vgprValuC+76] // *= alpha
v_mul_f32 v[vgprValuC+77], s[sgprAlpha], v[vgprValuC+77] // *= alpha
v_mul_f32 v[vgprValuC+78], s[sgprAlpha], v[vgprValuC+78] // *= alpha
v_mul_f32 v[vgprValuC+79], s[sgprAlpha], v[vgprValuC+79] // *= alpha
v_mul_f32 v[vgprValuC+80], s[sgprAlpha], v[vgprValuC+80] // *= alpha
v_mul_f32 v[vgprValuC+81], s[sgprAlpha], v[vgprValuC+81] // *= alpha
v_mul_f32 v[vgprValuC+82], s[sgprAlpha], v[vgprValuC+82] // *= alpha
v_mul_f32 v[vgprValuC+83], s[sgprAlpha], v[vgprValuC+83] // *= alpha
v_mul_f32 v[vgprValuC+84], s[sgprAlpha], v[vgprValuC+84] // *= alpha
v_mul_f32 v[vgprValuC+85], s[sgprAlpha], v[vgprValuC+85] // *= alpha
v_mul_f32 v[vgprValuC+86], s[sgprAlpha], v[vgprValuC+86] // *= alpha
v_mul_f32 v[vgprValuC+87], s[sgprAlpha], v[vgprValuC+87] // *= alpha
v_mul_f32 v[vgprValuC+88], s[sgprAlpha], v[vgprValuC+88] // *= alpha
v_mul_f32 v[vgprValuC+89], s[sgprAlpha], v[vgprValuC+89] // *= alpha
v_mul_f32 v[vgprValuC+90], s[sgprAlpha], v[vgprValuC+90] // *= alpha
v_mul_f32 v[vgprValuC+91], s[sgprAlpha], v[vgprValuC+91] // *= alpha
v_mul_f32 v[vgprValuC+92], s[sgprAlpha], v[vgprValuC+92] // *= alpha
v_mul_f32 v[vgprValuC+93], s[sgprAlpha], v[vgprValuC+93] // *= alpha
v_mul_f32 v[vgprValuC+94], s[sgprAlpha], v[vgprValuC+94] // *= alpha
v_mul_f32 v[vgprValuC+95], s[sgprAlpha], v[vgprValuC+95] // *= alpha
v_mul_f32 v[vgprValuC+96], s[sgprAlpha], v[vgprValuC+96] // *= alpha
v_mul_f32 v[vgprValuC+97], s[sgprAlpha], v[vgprValuC+97] // *= alpha
v_mul_f32 v[vgprValuC+98], s[sgprAlpha], v[vgprValuC+98] // *= alpha
v_mul_f32 v[vgprValuC+99], s[sgprAlpha], v[vgprValuC+99] // *= alpha
v_mul_f32 v[vgprValuC+100], s[sgprAlpha], v[vgprValuC+100] // *= alpha
v_mul_f32 v[vgprValuC+101], s[sgprAlpha], v[vgprValuC+101] // *= alpha
v_mul_f32 v[vgprValuC+102], s[sgprAlpha], v[vgprValuC+102] // *= alpha
v_mul_f32 v[vgprValuC+103], s[sgprAlpha], v[vgprValuC+103] // *= alpha
v_mul_f32 v[vgprValuC+104], s[sgprAlpha], v[vgprValuC+104] // *= alpha
v_mul_f32 v[vgprValuC+105], s[sgprAlpha], v[vgprValuC+105] // *= alpha
v_mul_f32 v[vgprValuC+106], s[sgprAlpha], v[vgprValuC+106] // *= alpha
v_mul_f32 v[vgprValuC+107], s[sgprAlpha], v[vgprValuC+107] // *= alpha
v_mul_f32 v[vgprValuC+108], s[sgprAlpha], v[vgprValuC+108] // *= alpha
v_mul_f32 v[vgprValuC+109], s[sgprAlpha], v[vgprValuC+109] // *= alpha
v_mul_f32 v[vgprValuC+110], s[sgprAlpha], v[vgprValuC+110] // *= alpha
v_mul_f32 v[vgprValuC+111], s[sgprAlpha], v[vgprValuC+111] // *= alpha
v_mul_f32 v[vgprValuC+112], s[sgprAlpha], v[vgprValuC+112] // *= alpha
v_mul_f32 v[vgprValuC+113], s[sgprAlpha], v[vgprValuC+113] // *= alpha
v_mul_f32 v[vgprValuC+114], s[sgprAlpha], v[vgprValuC+114] // *= alpha
v_mul_f32 v[vgprValuC+115], s[sgprAlpha], v[vgprValuC+115] // *= alpha
v_mul_f32 v[vgprValuC+120], s[sgprAlpha], v[vgprValuC+120] // *= alpha
v_mul_f32 v[vgprValuC+121], s[sgprAlpha], v[vgprValuC+121] // *= alpha
v_mul_f32 v[vgprValuC+122], s[sgprAlpha], v[vgprValuC+122] // *= alpha
v_mul_f32 v[vgprValuC+123], s[sgprAlpha], v[vgprValuC+123] // *= alpha
v_mul_f32 v[vgprValuC+124], s[sgprAlpha], v[vgprValuC+124] // *= alpha
v_mul_f32 v[vgprValuC+125], s[sgprAlpha], v[vgprValuC+125] // *= alpha
v_mul_f32 v[vgprValuC+126], s[sgprAlpha], v[vgprValuC+126] // *= alpha
v_mul_f32 v[vgprValuC+127], s[sgprAlpha], v[vgprValuC+127] // *= alpha
v_mul_f32 v[vgprValuC+128], s[sgprAlpha], v[vgprValuC+128] // *= alpha
v_mul_f32 v[vgprValuC+129], s[sgprAlpha], v[vgprValuC+129] // *= alpha
v_mul_f32 v[vgprValuC+130], s[sgprAlpha], v[vgprValuC+130] // *= alpha
v_mul_f32 v[vgprValuC+131], s[sgprAlpha], v[vgprValuC+131] // *= alpha
v_mul_f32 v[vgprValuC+132], s[sgprAlpha], v[vgprValuC+132] // *= alpha
v_mul_f32 v[vgprValuC+133], s[sgprAlpha], v[vgprValuC+133] // *= alpha
v_mul_f32 v[vgprValuC+134], s[sgprAlpha], v[vgprValuC+134] // *= alpha
v_mul_f32 v[vgprValuC+135], s[sgprAlpha], v[vgprValuC+135] // *= alpha
v_mul_f32 v[vgprValuC+136], s[sgprAlpha], v[vgprValuC+136] // *= alpha
v_mul_f32 v[vgprValuC+137], s[sgprAlpha], v[vgprValuC+137] // *= alpha
v_mul_f32 v[vgprValuC+138], s[sgprAlpha], v[vgprValuC+138] // *= alpha
v_mul_f32 v[vgprValuC+139], s[sgprAlpha], v[vgprValuC+139] // *= alpha
v_mul_f32 v[vgprValuC+140], s[sgprAlpha], v[vgprValuC+140] // *= alpha
v_mul_f32 v[vgprValuC+141], s[sgprAlpha], v[vgprValuC+141] // *= alpha
v_mul_f32 v[vgprValuC+142], s[sgprAlpha], v[vgprValuC+142] // *= alpha
v_mul_f32 v[vgprValuC+143], s[sgprAlpha], v[vgprValuC+143] // *= alpha
v_mul_f32 v[vgprValuC+144], s[sgprAlpha], v[vgprValuC+144] // *= alpha
v_mul_f32 v[vgprValuC+145], s[sgprAlpha], v[vgprValuC+145] // *= alpha
v_mul_f32 v[vgprValuC+146], s[sgprAlpha], v[vgprValuC+146] // *= alpha
v_mul_f32 v[vgprValuC+147], s[sgprAlpha], v[vgprValuC+147] // *= alpha
v_mul_f32 v[vgprValuC+148], s[sgprAlpha], v[vgprValuC+148] // *= alpha
v_mul_f32 v[vgprValuC+149], s[sgprAlpha], v[vgprValuC+149] // *= alpha
v_mul_f32 v[vgprValuC+150], s[sgprAlpha], v[vgprValuC+150] // *= alpha
v_mul_f32 v[vgprValuC+151], s[sgprAlpha], v[vgprValuC+151] // *= alpha
v_mul_f32 v[vgprValuC+152], s[sgprAlpha], v[vgprValuC+152] // *= alpha
v_mul_f32 v[vgprValuC+153], s[sgprAlpha], v[vgprValuC+153] // *= alpha
v_mul_f32 v[vgprValuC+154], s[sgprAlpha], v[vgprValuC+154] // *= alpha
v_mul_f32 v[vgprValuC+155], s[sgprAlpha], v[vgprValuC+155] // *= alpha
v_mul_f32 v[vgprValuC+156], s[sgprAlpha], v[vgprValuC+156] // *= alpha
v_mul_f32 v[vgprValuC+157], s[sgprAlpha], v[vgprValuC+157] // *= alpha
v_mul_f32 v[vgprValuC+158], s[sgprAlpha], v[vgprValuC+158] // *= alpha
v_mul_f32 v[vgprValuC+159], s[sgprAlpha], v[vgprValuC+159] // *= alpha
v_mul_f32 v[vgprValuC+160], s[sgprAlpha], v[vgprValuC+160] // *= alpha
v_mul_f32 v[vgprValuC+161], s[sgprAlpha], v[vgprValuC+161] // *= alpha
v_mul_f32 v[vgprValuC+162], s[sgprAlpha], v[vgprValuC+162] // *= alpha
v_mul_f32 v[vgprValuC+163], s[sgprAlpha], v[vgprValuC+163] // *= alpha
v_mul_f32 v[vgprValuC+164], s[sgprAlpha], v[vgprValuC+164] // *= alpha
v_mul_f32 v[vgprValuC+165], s[sgprAlpha], v[vgprValuC+165] // *= alpha
v_mul_f32 v[vgprValuC+166], s[sgprAlpha], v[vgprValuC+166] // *= alpha
v_mul_f32 v[vgprValuC+167], s[sgprAlpha], v[vgprValuC+167] // *= alpha
v_mul_f32 v[vgprValuC+168], s[sgprAlpha], v[vgprValuC+168] // *= alpha
v_mul_f32 v[vgprValuC+169], s[sgprAlpha], v[vgprValuC+169] // *= alpha
v_mul_f32 v[vgprValuC+170], s[sgprAlpha], v[vgprValuC+170] // *= alpha
v_mul_f32 v[vgprValuC+171], s[sgprAlpha], v[vgprValuC+171] // *= alpha
v_mul_f32 v[vgprValuC+172], s[sgprAlpha], v[vgprValuC+172] // *= alpha
v_mul_f32 v[vgprValuC+173], s[sgprAlpha], v[vgprValuC+173] // *= alpha
v_mul_f32 v[vgprValuC+174], s[sgprAlpha], v[vgprValuC+174] // *= alpha
v_mul_f32 v[vgprValuC+175], s[sgprAlpha], v[vgprValuC+175] // *= alpha
v_mul_f32 v[vgprValuC+176], s[sgprAlpha], v[vgprValuC+176] // *= alpha
v_mul_f32 v[vgprValuC+177], s[sgprAlpha], v[vgprValuC+177] // *= alpha
v_mul_f32 v[vgprValuC+178], s[sgprAlpha], v[vgprValuC+178] // *= alpha
v_mul_f32 v[vgprValuC+179], s[sgprAlpha], v[vgprValuC+179] // *= alpha
v_mul_f32 v[vgprValuC+180], s[sgprAlpha], v[vgprValuC+180] // *= alpha
v_mul_f32 v[vgprValuC+181], s[sgprAlpha], v[vgprValuC+181] // *= alpha
v_mul_f32 v[vgprValuC+182], s[sgprAlpha], v[vgprValuC+182] // *= alpha
v_mul_f32 v[vgprValuC+183], s[sgprAlpha], v[vgprValuC+183] // *= alpha
v_mul_f32 v[vgprValuC+184], s[sgprAlpha], v[vgprValuC+184] // *= alpha
v_mul_f32 v[vgprValuC+185], s[sgprAlpha], v[vgprValuC+185] // *= alpha
v_mul_f32 v[vgprValuC+186], s[sgprAlpha], v[vgprValuC+186] // *= alpha
v_mul_f32 v[vgprValuC+187], s[sgprAlpha], v[vgprValuC+187] // *= alpha
v_mul_f32 v[vgprValuC+188], s[sgprAlpha], v[vgprValuC+188] // *= alpha
v_mul_f32 v[vgprValuC+189], s[sgprAlpha], v[vgprValuC+189] // *= alpha
v_mul_f32 v[vgprValuC+190], s[sgprAlpha], v[vgprValuC+190] // *= alpha
v_mul_f32 v[vgprValuC+191], s[sgprAlpha], v[vgprValuC+191] // *= alpha
v_mul_f32 v[vgprValuC+192], s[sgprAlpha], v[vgprValuC+192] // *= alpha
v_mul_f32 v[vgprValuC+193], s[sgprAlpha], v[vgprValuC+193] // *= alpha
v_mul_f32 v[vgprValuC+194], s[sgprAlpha], v[vgprValuC+194] // *= alpha
v_mul_f32 v[vgprValuC+195], s[sgprAlpha], v[vgprValuC+195] // *= alpha
v_mul_f32 v[vgprValuC+196], s[sgprAlpha], v[vgprValuC+196] // *= alpha
v_mul_f32 v[vgprValuC+197], s[sgprAlpha], v[vgprValuC+197] // *= alpha
v_mul_f32 v[vgprValuC+198], s[sgprAlpha], v[vgprValuC+198] // *= alpha
v_mul_f32 v[vgprValuC+199], s[sgprAlpha], v[vgprValuC+199] // *= alpha
v_mul_f32 v[vgprValuC+200], s[sgprAlpha], v[vgprValuC+200] // *= alpha
v_mul_f32 v[vgprValuC+201], s[sgprAlpha], v[vgprValuC+201] // *= alpha
v_mul_f32 v[vgprValuC+202], s[sgprAlpha], v[vgprValuC+202] // *= alpha
v_mul_f32 v[vgprValuC+203], s[sgprAlpha], v[vgprValuC+203] // *= alpha
v_mul_f32 v[vgprValuC+204], s[sgprAlpha], v[vgprValuC+204] // *= alpha
v_mul_f32 v[vgprValuC+205], s[sgprAlpha], v[vgprValuC+205] // *= alpha
v_mul_f32 v[vgprValuC+206], s[sgprAlpha], v[vgprValuC+206] // *= alpha
v_mul_f32 v[vgprValuC+207], s[sgprAlpha], v[vgprValuC+207] // *= alpha
v_mul_f32 v[vgprValuC+208], s[sgprAlpha], v[vgprValuC+208] // *= alpha
v_mul_f32 v[vgprValuC+209], s[sgprAlpha], v[vgprValuC+209] // *= alpha
v_mul_f32 v[vgprValuC+210], s[sgprAlpha], v[vgprValuC+210] // *= alpha
v_mul_f32 v[vgprValuC+211], s[sgprAlpha], v[vgprValuC+211] // *= alpha
v_mul_f32 v[vgprValuC+212], s[sgprAlpha], v[vgprValuC+212] // *= alpha
v_mul_f32 v[vgprValuC+213], s[sgprAlpha], v[vgprValuC+213] // *= alpha
v_mul_f32 v[vgprValuC+214], s[sgprAlpha], v[vgprValuC+214] // *= alpha
v_mul_f32 v[vgprValuC+215], s[sgprAlpha], v[vgprValuC+215] // *= alpha
v_mul_f32 v[vgprValuC+216], s[sgprAlpha], v[vgprValuC+216] // *= alpha
v_mul_f32 v[vgprValuC+217], s[sgprAlpha], v[vgprValuC+217] // *= alpha
v_mul_f32 v[vgprValuC+218], s[sgprAlpha], v[vgprValuC+218] // *= alpha
v_mul_f32 v[vgprValuC+219], s[sgprAlpha], v[vgprValuC+219] // *= alpha
v_mul_f32 v[vgprValuC+220], s[sgprAlpha], v[vgprValuC+220] // *= alpha
v_mul_f32 v[vgprValuC+221], s[sgprAlpha], v[vgprValuC+221] // *= alpha
v_mul_f32 v[vgprValuC+222], s[sgprAlpha], v[vgprValuC+222] // *= alpha
v_mul_f32 v[vgprValuC+223], s[sgprAlpha], v[vgprValuC+223] // *= alpha
v_mul_f32 v[vgprValuC+224], s[sgprAlpha], v[vgprValuC+224] // *= alpha
v_mul_f32 v[vgprValuC+225], s[sgprAlpha], v[vgprValuC+225] // *= alpha
v_mul_f32 v[vgprValuC+226], s[sgprAlpha], v[vgprValuC+226] // *= alpha
v_mul_f32 v[vgprValuC+227], s[sgprAlpha], v[vgprValuC+227] // *= alpha
v_mul_f32 v[vgprValuC+228], s[sgprAlpha], v[vgprValuC+228] // *= alpha
v_mul_f32 v[vgprValuC+229], s[sgprAlpha], v[vgprValuC+229] // *= alpha
v_mul_f32 v[vgprValuC+230], s[sgprAlpha], v[vgprValuC+230] // *= alpha
v_mul_f32 v[vgprValuC+231], s[sgprAlpha], v[vgprValuC+231] // *= alpha
v_mul_f32 v[vgprValuC+232], s[sgprAlpha], v[vgprValuC+232] // *= alpha
v_mul_f32 v[vgprValuC+233], s[sgprAlpha], v[vgprValuC+233] // *= alpha
v_mul_f32 v[vgprValuC+234], s[sgprAlpha], v[vgprValuC+234] // *= alpha
v_mul_f32 v[vgprValuC+235], s[sgprAlpha], v[vgprValuC+235] // *= alpha
v_mul_f32 v[vgprValuC+236], s[sgprAlpha], v[vgprValuC+236] // *= alpha
v_mul_f32 v[vgprValuC+237], s[sgprAlpha], v[vgprValuC+237] // *= alpha
v_mul_f32 v[vgprValuC+238], s[sgprAlpha], v[vgprValuC+238] // *= alpha
v_mul_f32 v[vgprValuC+239], s[sgprAlpha], v[vgprValuC+239] // *= alpha
v_mul_f32 v[vgprValuC+240], s[sgprAlpha], v[vgprValuC+240] // *= alpha
v_mul_f32 v[vgprValuC+241], s[sgprAlpha], v[vgprValuC+241] // *= alpha
v_mul_f32 v[vgprValuC+242], s[sgprAlpha], v[vgprValuC+242] // *= alpha
v_mul_f32 v[vgprValuC+243], s[sgprAlpha], v[vgprValuC+243] // *= alpha
v_mul_f32 v[vgprValuC+244], s[sgprAlpha], v[vgprValuC+244] // *= alpha
v_mul_f32 v[vgprValuC+245], s[sgprAlpha], v[vgprValuC+245] // *= alpha
v_mul_f32 v[vgprValuC+246], s[sgprAlpha], v[vgprValuC+246] // *= alpha
v_mul_f32 v[vgprValuC+247], s[sgprAlpha], v[vgprValuC+247] // *= alpha
v_mul_f32 v[vgprValuC+248], s[sgprAlpha], v[vgprValuC+248] // *= alpha
v_mul_f32 v[vgprValuC+249], s[sgprAlpha], v[vgprValuC+249] // *= alpha
v_mul_f32 v[vgprValuC+250], s[sgprAlpha], v[vgprValuC+250] // *= alpha
v_mul_f32 v[vgprValuC+251], s[sgprAlpha], v[vgprValuC+251] // *= alpha
v_mul_f32 v[vgprValuC+252], s[sgprAlpha], v[vgprValuC+252] // *= alpha
v_mul_f32 v[vgprValuC+253], s[sgprAlpha], v[vgprValuC+253] // *= alpha
v_mul_f32 v[vgprValuC+254], s[sgprAlpha], v[vgprValuC+254] // *= alpha
v_mul_f32 v[vgprValuC+255], s[sgprAlpha], v[vgprValuC+255] // *= alpha

/* apply mask, calc new C and issue writes */
v_mov_b32 v7, 0xffff0000                           // mask for pack two bfloat16 element to 32bit
v_mov_b32 v8, 0x7fff0000                           // fp32 Nan
v_mov_b32 v9, 0x7fff                               // rounding bias for bfloat16
v_cmp_u_f32 s[54:55], v[vgprValuC+12], v[vgprValuC+12] // check Nan
v_bfe_u32 v6, v[vgprValuC+12], 16, 1               // Non-Nan case: store lsb of bf16
v_add3_u32 v6, v[vgprValuC+12], v6, v9             // Non-Nan case: add lsb and the increment for rounding
v_cndmask_b32 v[vgprValuC+12], v6, v8, s[54:55]    // 
v_lshrrev_b32 v[vgprValuC+12], 16, v[vgprValuC+12] // convert C to bf16
v_cmp_u_f32 s[54:55], v[vgprValuC+13], v[vgprValuC+13] // check Nan
v_bfe_u32 v6, v[vgprValuC+13], 16, 1               // Non-Nan case: store lsb of bf16
v_add3_u32 v6, v[vgprValuC+13], v6, v9             // Non-Nan case: add lsb and the increment for rounding
v_cndmask_b32 v[vgprValuC+13], v6, v8, s[54:55]    // 
v_and_or_b32 v12, v[vgprValuC+13], v7, v[vgprValuC+12] // pack two bf16 to dword
v_cmp_u_f32 s[54:55], v[vgprValuC+14], v[vgprValuC+14] // check Nan
v_bfe_u32 v6, v[vgprValuC+14], 16, 1               // Non-Nan case: store lsb of bf16
v_add3_u32 v6, v[vgprValuC+14], v6, v9             // Non-Nan case: add lsb and the increment for rounding
v_cndmask_b32 v[vgprValuC+14], v6, v8, s[54:55]    // 
v_lshrrev_b32 v[vgprValuC+14], 16, v[vgprValuC+14] // convert C to bf16
v_cmp_u_f32 s[54:55], v[vgprValuC+15], v[vgprValuC+15] // check Nan
v_bfe_u32 v6, v[vgprValuC+15], 16, 1               // Non-Nan case: store lsb of bf16
v_add3_u32 v6, v[vgprValuC+15], v6, v9             // Non-Nan case: add lsb and the increment for rounding
v_cndmask_b32 v[vgprValuC+15], v6, v8, s[54:55]    // 
v_and_or_b32 v13, v[vgprValuC+15], v7, v[vgprValuC+14] // pack two bf16 to dword
	;; [unrolled: 10-line block ×44, first 2 shown]
v_cmp_u_f32 s[54:55], v[vgprValuC+100], v[vgprValuC+100] // check Nan
v_bfe_u32 v6, v[vgprValuC+100], 16, 1              // Non-Nan case: store lsb of bf16
v_add3_u32 v6, v[vgprValuC+100], v6, v9            // Non-Nan case: add lsb and the increment for rounding
v_cndmask_b32 v[vgprValuC+100], v6, v8, s[54:55]   // 
v_lshrrev_b32 v[vgprValuC+100], 16, v[vgprValuC+100] // convert C to bf16
v_cmp_u_f32 s[54:55], v[vgprValuC+101], v[vgprValuC+101] // check Nan
v_bfe_u32 v6, v[vgprValuC+101], 16, 1              // Non-Nan case: store lsb of bf16
v_add3_u32 v6, v[vgprValuC+101], v6, v9            // Non-Nan case: add lsb and the increment for rounding
v_cndmask_b32 v[vgprValuC+101], v6, v8, s[54:55]   // 
v_and_or_b32 v100, v[vgprValuC+101], v7, v[vgprValuC+100] // pack two bf16 to dword
v_cmp_u_f32 s[54:55], v[vgprValuC+102], v[vgprValuC+102] // check Nan
v_bfe_u32 v6, v[vgprValuC+102], 16, 1              // Non-Nan case: store lsb of bf16
v_add3_u32 v6, v[vgprValuC+102], v6, v9            // Non-Nan case: add lsb and the increment for rounding
v_cndmask_b32 v[vgprValuC+102], v6, v8, s[54:55]   // 
v_lshrrev_b32 v[vgprValuC+102], 16, v[vgprValuC+102] // convert C to bf16
v_cmp_u_f32 s[54:55], v[vgprValuC+103], v[vgprValuC+103] // check Nan
v_bfe_u32 v6, v[vgprValuC+103], 16, 1              // Non-Nan case: store lsb of bf16
v_add3_u32 v6, v[vgprValuC+103], v6, v9            // Non-Nan case: add lsb and the increment for rounding
v_cndmask_b32 v[vgprValuC+103], v6, v8, s[54:55]   // 
v_and_or_b32 v101, v[vgprValuC+103], v7, v[vgprValuC+102] // pack two bf16 to dword
	;; [unrolled: 10-line block ×76, first 2 shown]
_buffer_store_b64 v[12:13], v10, s[sgprSrdD:sgprSrdD+3], 0, offen, offset:0,  sc0 sc1 // store D
_buffer_store_b64 v[16:17], v10, s[sgprSrdD:sgprSrdD+3], 0, offen, offset:128,  sc0 sc1 // store D
_buffer_store_b64 v[20:21], v10, s[sgprSrdD:sgprSrdD+3], 0, offen, offset:256,  sc0 sc1 // store D
_buffer_store_b64 v[24:25], v10, s[sgprSrdD:sgprSrdD+3], 0, offen, offset:384,  sc0 sc1 // store D
s_lshl_b32  s54, s[sgprStrideD1J], 1               // incToNextRow: Scale by BPE
s_add_u32  s[sgprSrdD+0], s[sgprSrdD+0], s54       // incToNextRow: gra SRD += inc(lower)
s_addc_u32  s[sgprSrdD+1], s[sgprSrdD+1], 0        // incToNextRow: gra SRD += inc(upper)
_buffer_store_b64 v[28:29], v10, s[sgprSrdD:sgprSrdD+3], 0, offen, offset:0,  sc0 sc1 // store D
_buffer_store_b64 v[32:33], v10, s[sgprSrdD:sgprSrdD+3], 0, offen, offset:128,  sc0 sc1 // store D
_buffer_store_b64 v[36:37], v10, s[sgprSrdD:sgprSrdD+3], 0, offen, offset:256,  sc0 sc1 // store D
_buffer_store_b64 v[40:41], v10, s[sgprSrdD:sgprSrdD+3], 0, offen, offset:384,  sc0 sc1 // store D
s_lshl_b32  s54, s[sgprStrideD1J], 1               // incToNextRow: Scale by BPE
s_add_u32  s[sgprSrdD+0], s[sgprSrdD+0], s54       // incToNextRow: gra SRD += inc(lower)
s_addc_u32  s[sgprSrdD+1], s[sgprSrdD+1], 0        // incToNextRow: gra SRD += inc(upper)
_buffer_store_b64 v[44:45], v10, s[sgprSrdD:sgprSrdD+3], 0, offen, offset:0,  sc0 sc1 // store D
_buffer_store_b64 v[48:49], v10, s[sgprSrdD:sgprSrdD+3], 0, offen, offset:128,  sc0 sc1 // store D
_buffer_store_b64 v[52:53], v10, s[sgprSrdD:sgprSrdD+3], 0, offen, offset:256,  sc0 sc1 // store D
_buffer_store_b64 v[56:57], v10, s[sgprSrdD:sgprSrdD+3], 0, offen, offset:384,  sc0 sc1 // store D
s_lshl_b32  s54, s[sgprStrideD1J], 1               // incToNextRow: Scale by BPE
s_add_u32  s[sgprSrdD+0], s[sgprSrdD+0], s54       // incToNextRow: gra SRD += inc(lower)
s_addc_u32  s[sgprSrdD+1], s[sgprSrdD+1], 0        // incToNextRow: gra SRD += inc(upper)
_buffer_store_b64 v[60:61], v10, s[sgprSrdD:sgprSrdD+3], 0, offen, offset:0,  sc0 sc1 // store D
_buffer_store_b64 v[64:65], v10, s[sgprSrdD:sgprSrdD+3], 0, offen, offset:128,  sc0 sc1 // store D
_buffer_store_b64 v[68:69], v10, s[sgprSrdD:sgprSrdD+3], 0, offen, offset:256,  sc0 sc1 // store D
_buffer_store_b64 v[72:73], v10, s[sgprSrdD:sgprSrdD+3], 0, offen, offset:384,  sc0 sc1 // store D
s_mul_i32 s54, s[sgprStrideD1J], 122               // scale StrideD *= numRows(61) * bpe
s_add_u32  s[sgprSrdD+0], s[sgprSrdD+0], s54       // incToNextRow: gra SRD += inc(lower)
s_addc_u32  s[sgprSrdD+1], s[sgprSrdD+1], 0        // incToNextRow: gra SRD += inc(upper)
_buffer_store_b64 v[76:77], v10, s[sgprSrdD:sgprSrdD+3], 0, offen, offset:0,  sc0 sc1 // store D
_buffer_store_b64 v[80:81], v10, s[sgprSrdD:sgprSrdD+3], 0, offen, offset:128,  sc0 sc1 // store D
_buffer_store_b64 v[84:85], v10, s[sgprSrdD:sgprSrdD+3], 0, offen, offset:256,  sc0 sc1 // store D
_buffer_store_b64 v[88:89], v10, s[sgprSrdD:sgprSrdD+3], 0, offen, offset:384,  sc0 sc1 // store D
s_lshl_b32  s54, s[sgprStrideD1J], 1               // incToNextRow: Scale by BPE
s_add_u32  s[sgprSrdD+0], s[sgprSrdD+0], s54       // incToNextRow: gra SRD += inc(lower)
s_addc_u32  s[sgprSrdD+1], s[sgprSrdD+1], 0        // incToNextRow: gra SRD += inc(upper)
_buffer_store_b64 v[92:93], v10, s[sgprSrdD:sgprSrdD+3], 0, offen, offset:0,  sc0 sc1 // store D
_buffer_store_b64 v[96:97], v10, s[sgprSrdD:sgprSrdD+3], 0, offen, offset:128,  sc0 sc1 // store D
_buffer_store_b64 v[100:101], v10, s[sgprSrdD:sgprSrdD+3], 0, offen, offset:256,  sc0 sc1 // store D
_buffer_store_b64 v[104:105], v10, s[sgprSrdD:sgprSrdD+3], 0, offen, offset:384,  sc0 sc1 // store D
s_lshl_b32  s54, s[sgprStrideD1J], 1               // incToNextRow: Scale by BPE
s_add_u32  s[sgprSrdD+0], s[sgprSrdD+0], s54       // incToNextRow: gra SRD += inc(lower)
s_addc_u32  s[sgprSrdD+1], s[sgprSrdD+1], 0        // incToNextRow: gra SRD += inc(upper)
_buffer_store_b64 v[108:109], v10, s[sgprSrdD:sgprSrdD+3], 0, offen, offset:0,  sc0 sc1 // store D
_buffer_store_b64 v[112:113], v10, s[sgprSrdD:sgprSrdD+3], 0, offen, offset:128,  sc0 sc1 // store D
_buffer_store_b64 v[120:121], v10, s[sgprSrdD:sgprSrdD+3], 0, offen, offset:256,  sc0 sc1 // store D
_buffer_store_b64 v[124:125], v10, s[sgprSrdD:sgprSrdD+3], 0, offen, offset:384,  sc0 sc1 // store D
s_lshl_b32  s54, s[sgprStrideD1J], 1               // incToNextRow: Scale by BPE
s_add_u32  s[sgprSrdD+0], s[sgprSrdD+0], s54       // incToNextRow: gra SRD += inc(lower)
s_addc_u32  s[sgprSrdD+1], s[sgprSrdD+1], 0        // incToNextRow: gra SRD += inc(upper)
_buffer_store_b64 v[128:129], v10, s[sgprSrdD:sgprSrdD+3], 0, offen, offset:0,  sc0 sc1 // store D
_buffer_store_b64 v[132:133], v10, s[sgprSrdD:sgprSrdD+3], 0, offen, offset:128,  sc0 sc1 // store D
_buffer_store_b64 v[136:137], v10, s[sgprSrdD:sgprSrdD+3], 0, offen, offset:256,  sc0 sc1 // store D
_buffer_store_b64 v[140:141], v10, s[sgprSrdD:sgprSrdD+3], 0, offen, offset:384,  sc0 sc1 // store D
s_mul_i32 s54, s[sgprStrideD1J], 122               // scale StrideD *= numRows(61) * bpe
s_add_u32  s[sgprSrdD+0], s[sgprSrdD+0], s54       // incToNextRow: gra SRD += inc(lower)
s_addc_u32  s[sgprSrdD+1], s[sgprSrdD+1], 0        // incToNextRow: gra SRD += inc(upper)
	;; [unrolled: 28-line block ×3, first 2 shown]
_buffer_store_b64 v[208:209], v10, s[sgprSrdD:sgprSrdD+3], 0, offen, offset:0,  sc0 sc1 // store D
_buffer_store_b64 v[212:213], v10, s[sgprSrdD:sgprSrdD+3], 0, offen, offset:128,  sc0 sc1 // store D
	;; [unrolled: 1-line block ×4, first 2 shown]
s_lshl_b32  s54, s[sgprStrideD1J], 1               // incToNextRow: Scale by BPE
s_add_u32  s[sgprSrdD+0], s[sgprSrdD+0], s54       // incToNextRow: gra SRD += inc(lower)
s_addc_u32  s[sgprSrdD+1], s[sgprSrdD+1], 0        // incToNextRow: gra SRD += inc(upper)
_buffer_store_b64 v[224:225], v10, s[sgprSrdD:sgprSrdD+3], 0, offen, offset:0,  sc0 sc1 // store D
_buffer_store_b64 v[228:229], v10, s[sgprSrdD:sgprSrdD+3], 0, offen, offset:128,  sc0 sc1 // store D
_buffer_store_b64 v[232:233], v10, s[sgprSrdD:sgprSrdD+3], 0, offen, offset:256,  sc0 sc1 // store D
_buffer_store_b64 v[236:237], v10, s[sgprSrdD:sgprSrdD+3], 0, offen, offset:384,  sc0 sc1 // store D
s_lshl_b32  s54, s[sgprStrideD1J], 1               // incToNextRow: Scale by BPE
s_add_u32  s[sgprSrdD+0], s[sgprSrdD+0], s54       // incToNextRow: gra SRD += inc(lower)
s_addc_u32  s[sgprSrdD+1], s[sgprSrdD+1], 0        // incToNextRow: gra SRD += inc(upper)
_buffer_store_b64 v[240:241], v10, s[sgprSrdD:sgprSrdD+3], 0, offen, offset:0,  sc0 sc1 // store D
_buffer_store_b64 v[244:245], v10, s[sgprSrdD:sgprSrdD+3], 0, offen, offset:128,  sc0 sc1 // store D
	;; [unrolled: 1-line block ×4, first 2 shown]
s_nop 0                                            // 1 wait state required when next inst writes vgprs held by previous dwordx4 store inst
/* optSingleColVgpr=1 optSharedColVgpr=0 optSGPRUsage=BufferLoad_Mask optSrdIncForRow=1 */
s_sleep 5 // optimization: sync and wait
s_barrier

/******************************************/
/* Global Write Alpha Batch #1 (d1,d0,vc1,vc0) = */
/*    (3,0,3,0:vw4); (3,1,3,0:vw4); (3,2,3,0:vw4); (3,3,3,0:vw4) */
/******************************************/

/* calc coords, apply mask, and issue loads (if necessary) */
/* (d1,vc1,d0,vc0)=(3,3,0,0) */
/* (d1,vc1,d0,vc0)=(3,3,1,0) */
	;; [unrolled: 1-line block ×4, first 2 shown]
v_accvgpr_read_b32 v[vgprValuC+12], acc195 // copy acc to vreg[240]
v_accvgpr_read_b32 v[vgprValuC+13], acc199 // copy acc to vreg[241]
v_accvgpr_read_b32 v[vgprValuC+14], acc203 // copy acc to vreg[242]
v_accvgpr_read_b32 v[vgprValuC+15], acc207 // copy acc to vreg[243]
v_accvgpr_read_b32 v[vgprValuC+16], acc211 // copy acc to vreg[244]
v_accvgpr_read_b32 v[vgprValuC+17], acc215 // copy acc to vreg[245]
v_accvgpr_read_b32 v[vgprValuC+18], acc219 // copy acc to vreg[246]
v_accvgpr_read_b32 v[vgprValuC+19], acc223 // copy acc to vreg[247]
v_accvgpr_read_b32 v[vgprValuC+20], acc227 // copy acc to vreg[248]
v_accvgpr_read_b32 v[vgprValuC+21], acc231 // copy acc to vreg[249]
v_accvgpr_read_b32 v[vgprValuC+22], acc235 // copy acc to vreg[250]
v_accvgpr_read_b32 v[vgprValuC+23], acc239 // copy acc to vreg[251]
v_accvgpr_read_b32 v[vgprValuC+24], acc243 // copy acc to vreg[252]
v_accvgpr_read_b32 v[vgprValuC+25], acc247 // copy acc to vreg[253]
v_accvgpr_read_b32 v[vgprValuC+26], acc251 // copy acc to vreg[254]
v_accvgpr_read_b32 v[vgprValuC+27], acc255 // copy acc to vreg[255]
s_nop 1                                            // 2 wait states required before reading vgpr

/* rC *= alpha batchElements=[(3, 0, 3, 0), (3, 1, 3, 0), (3, 2, 3, 0), (3, 3, 3, 0)] */
v_mul_f32 v[vgprValuC+12], s[sgprAlpha], v[vgprValuC+12] // *= alpha
v_mul_f32 v[vgprValuC+13], s[sgprAlpha], v[vgprValuC+13] // *= alpha
	;; [unrolled: 1-line block ×16, first 2 shown]

/* apply mask, calc new C and issue writes */
v_mov_b32 v7, 0xffff0000                           // mask for pack two bfloat16 element to 32bit
v_mov_b32 v8, 0x7fff0000                           // fp32 Nan
v_mov_b32 v9, 0x7fff                               // rounding bias for bfloat16
v_cmp_u_f32 s[54:55], v[vgprValuC+12], v[vgprValuC+12] // check Nan
v_bfe_u32 v6, v[vgprValuC+12], 16, 1               // Non-Nan case: store lsb of bf16
v_add3_u32 v6, v[vgprValuC+12], v6, v9             // Non-Nan case: add lsb and the increment for rounding
v_cndmask_b32 v[vgprValuC+12], v6, v8, s[54:55]    // 
v_lshrrev_b32 v[vgprValuC+12], 16, v[vgprValuC+12] // convert C to bf16
v_cmp_u_f32 s[54:55], v[vgprValuC+13], v[vgprValuC+13] // check Nan
v_bfe_u32 v6, v[vgprValuC+13], 16, 1               // Non-Nan case: store lsb of bf16
v_add3_u32 v6, v[vgprValuC+13], v6, v9             // Non-Nan case: add lsb and the increment for rounding
v_cndmask_b32 v[vgprValuC+13], v6, v8, s[54:55]    // 
v_and_or_b32 v12, v[vgprValuC+13], v7, v[vgprValuC+12] // pack two bf16 to dword
v_cmp_u_f32 s[54:55], v[vgprValuC+14], v[vgprValuC+14] // check Nan
v_bfe_u32 v6, v[vgprValuC+14], 16, 1               // Non-Nan case: store lsb of bf16
v_add3_u32 v6, v[vgprValuC+14], v6, v9             // Non-Nan case: add lsb and the increment for rounding
v_cndmask_b32 v[vgprValuC+14], v6, v8, s[54:55]    // 
v_lshrrev_b32 v[vgprValuC+14], 16, v[vgprValuC+14] // convert C to bf16
v_cmp_u_f32 s[54:55], v[vgprValuC+15], v[vgprValuC+15] // check Nan
v_bfe_u32 v6, v[vgprValuC+15], 16, 1               // Non-Nan case: store lsb of bf16
v_add3_u32 v6, v[vgprValuC+15], v6, v9             // Non-Nan case: add lsb and the increment for rounding
v_cndmask_b32 v[vgprValuC+15], v6, v8, s[54:55]    // 
v_and_or_b32 v13, v[vgprValuC+15], v7, v[vgprValuC+14] // pack two bf16 to dword
	;; [unrolled: 10-line block ×8, first 2 shown]
s_lshl_b32  s54, s[sgprStrideD1J], 1               // incToNextRow: Scale by BPE
s_add_u32  s[sgprSrdD+0], s[sgprSrdD+0], s54       // incToNextRow: gra SRD += inc(lower)
s_addc_u32  s[sgprSrdD+1], s[sgprSrdD+1], 0        // incToNextRow: gra SRD += inc(upper)
_buffer_store_b64 v[12:13], v10, s[sgprSrdD:sgprSrdD+3], 0, offen, offset:0,  sc0 sc1 // store D
_buffer_store_b64 v[16:17], v10, s[sgprSrdD:sgprSrdD+3], 0, offen, offset:128,  sc0 sc1 // store D
	;; [unrolled: 1-line block ×4, first 2 shown]
s_nop 0                                            // 1 wait state required when next inst writes vgprs held by previous dwordx4 store inst
s_branch label_GW_End_44                           // jump to end
GW_B0_E1_36:

/* edge=1, allocate 6 sgpr. perBatchTmpS=4 perBatchMaskS=2 perElementMaskS=0 elementsPerBatch=80 */
/* optSingleColVgpr=0 optSharedColVgpr=0 optSGPRUsage=BufferLoad_Edge_Mask optSrdIncForRow=0 */
s_sleep 5 // optimization: sync and wait
s_barrier

/******************************************/
/* Global Write Alpha Edge Batch #0 (d1,d0,vc1,vc0) = */
/*    (0,0,0,0:vw1); (0,0,0,1:vw1); (0,0,0,2:vw1); (0,0,0,3:vw1); (0,1,0,0:vw1); (0,1,0,1:vw1); (0,1,0,2:vw1); (0,1,0,3:vw1); (0,2,0,0:vw1); (0,2,0,1:vw1); (0,2,0,2:vw1); (0,2,0,3:vw1); (0,3,0,0:vw1); (0,3,0,1:vw1); (0,3,0,2:vw1); (0,3,0,3:vw1); (0,0,1,0:vw1); (0,0,1,1:vw1); (0,0,1,2:vw1); (0,0,1,3:vw1); (0,1,1,0:vw1); (0,1,1,1:vw1); (0,1,1,2:vw1); (0,1,1,3:vw1); (0,2,1,0:vw1); (0,2,1,1:vw1); (0,2,1,2:vw1); (0,2,1,3:vw1); (0,3,1,0:vw1); (0,3,1,1:vw1); (0,3,1,2:vw1); (0,3,1,3:vw1); (0,0,2,0:vw1); (0,0,2,1:vw1); (0,0,2,2:vw1); (0,0,2,3:vw1); (0,1,2,0:vw1); (0,1,2,1:vw1); (0,1,2,2:vw1); (0,1,2,3:vw1); (0,2,2,0:vw1); (0,2,2,1:vw1); (0,2,2,2:vw1); (0,2,2,3:vw1); (0,3,2,0:vw1); (0,3,2,1:vw1); (0,3,2,2:vw1); (0,3,2,3:vw1); (0,0,3,0:vw1); (0,0,3,1:vw1); (0,0,3,2:vw1); (0,0,3,3:vw1); (0,1,3,0:vw1); (0,1,3,1:vw1); (0,1,3,2:vw1); (0,1,3,3:vw1); (0,2,3,0:vw1); (0,2,3,1:vw1); (0,2,3,2:vw1); (0,2,3,3:vw1); (0,3,3,0:vw1); (0,3,3,1:vw1); (0,3,3,2:vw1); (0,3,3,3:vw1); (1,0,0,0:vw1); (1,0,0,1:vw1); (1,0,0,2:vw1); (1,0,0,3:vw1); (1,1,0,0:vw1); (1,1,0,1:vw1); (1,1,0,2:vw1); (1,1,0,3:vw1); (1,2,0,0:vw1); (1,2,0,1:vw1); (1,2,0,2:vw1); (1,2,0,3:vw1); (1,3,0,0:vw1); (1,3,0,1:vw1); (1,3,0,2:vw1); (1,3,0,3:vw1) */
/******************************************/

/* calc coords, apply mask, and issue loads (if necessary) */
/* (d1,vc1,d0,vc0)=(0,0,0,0) */
v_cmp_lt_u32 s[54:55], v0, s[sgprSizeI]            // coord0 < size0
v_cmp_lt_u32 s[58:59], v1, s[sgprSizeJ]            // coord1 < size1
s_and_b64 s[58:59], s[54:55], s[58:59]             // in0 && in1
_v_add_lshl_u32 v10, v3, v0, 0x1                   // scaleToBpe: accumulate d0 lower and *= bpe into Cin addr
v_cndmask_b32 v10, -1, v10, s[58:59]               // LDD clip if OOB. offset
/* (d1,vc1,d0,vc0)=(0,0,0,1) */
_v_add_co_u32 v4, vcc, v0, 1                       // coord0.1: coord0 += d0*sg0*VW + vc0
v_cmp_lt_u32 s[54:55], v4, s[sgprSizeI]            // coord0 < size0
v_cmp_lt_u32 s[58:59], v1, s[sgprSizeJ]            // coord1 < size1
s_and_b64 s[58:59], s[54:55], s[58:59]             // in0 && in1
_v_add_lshl_u32 v13, v3, v4, 0x1                   // scaleToBpe: accumulate d0 lower and *= bpe into Cin addr
v_cndmask_b32 v13, -1, v13, s[58:59]               // LDD clip if OOB. offset
/* (d1,vc1,d0,vc0)=(0,0,0,2) */
_v_add_co_u32 v4, vcc, v0, 2                       // coord0.1: coord0 += d0*sg0*VW + vc0
	;; [unrolled: 7-line block ×3, first 2 shown]
v_cmp_lt_u32 s[54:55], v4, s[sgprSizeI]            // coord0 < size0
v_cmp_lt_u32 s[58:59], v1, s[sgprSizeJ]            // coord1 < size1
s_and_b64 s[58:59], s[54:55], s[58:59]             // in0 && in1
_v_add_lshl_u32 v19, v3, v4, 0x1                   // scaleToBpe: accumulate d0 lower and *= bpe into Cin addr
v_cndmask_b32 v19, -1, v19, s[58:59]               // LDD clip if OOB. offset
/* (d1,vc1,d0,vc0)=(0,0,1,0) */
_v_add_co_u32 v4, vcc, v0, 64                      // coord0.1: coord0 += d0*sg0*VW + vc0
v_cmp_lt_u32 s[54:55], v4, s[sgprSizeI]            // coord0 < size0
v_cmp_lt_u32 s[58:59], v1, s[sgprSizeJ]            // coord1 < size1
s_and_b64 s[58:59], s[54:55], s[58:59]             // in0 && in1
_v_add_lshl_u32 v22, v3, v4, 0x1                   // scaleToBpe: accumulate d0 lower and *= bpe into Cin addr
v_cndmask_b32 v22, -1, v22, s[58:59]               // LDD clip if OOB. offset
/* (d1,vc1,d0,vc0)=(0,0,1,1) */
s_mov_b32 s54, 65                                  // coordOffset0 d0=1 vc0=1
_v_add_co_u32 v4, vcc, v0, s54                     // coord0.2: coord0 += d0*sg0*VW + vc0
v_cmp_lt_u32 s[54:55], v4, s[sgprSizeI]            // coord0 < size0
v_cmp_lt_u32 s[58:59], v1, s[sgprSizeJ]            // coord1 < size1
s_and_b64 s[58:59], s[54:55], s[58:59]             // in0 && in1
_v_add_lshl_u32 v25, v3, v4, 0x1                   // scaleToBpe: accumulate d0 lower and *= bpe into Cin addr
v_cndmask_b32 v25, -1, v25, s[58:59]               // LDD clip if OOB. offset
/* (d1,vc1,d0,vc0)=(0,0,1,2) */
s_mov_b32 s54, 66                                  // coordOffset0 d0=1 vc0=2
_v_add_co_u32 v4, vcc, v0, s54                     // coord0.2: coord0 += d0*sg0*VW + vc0
	;; [unrolled: 8-line block ×3, first 2 shown]
v_cmp_lt_u32 s[54:55], v4, s[sgprSizeI]            // coord0 < size0
v_cmp_lt_u32 s[58:59], v1, s[sgprSizeJ]            // coord1 < size1
s_and_b64 s[58:59], s[54:55], s[58:59]             // in0 && in1
_v_add_lshl_u32 v31, v3, v4, 0x1                   // scaleToBpe: accumulate d0 lower and *= bpe into Cin addr
v_cndmask_b32 v31, -1, v31, s[58:59]               // LDD clip if OOB. offset
/* (d1,vc1,d0,vc0)=(0,0,2,0) */
s_mov_b32 s54, 128                                 // coordOffset0 d0=2 vc0=0
_v_add_co_u32 v4, vcc, v0, s54                     // coord0.2: coord0 += d0*sg0*VW + vc0
v_cmp_lt_u32 s[54:55], v4, s[sgprSizeI]            // coord0 < size0
v_cmp_lt_u32 s[58:59], v1, s[sgprSizeJ]            // coord1 < size1
s_and_b64 s[58:59], s[54:55], s[58:59]             // in0 && in1
_v_add_lshl_u32 v34, v3, v4, 0x1                   // scaleToBpe: accumulate d0 lower and *= bpe into Cin addr
v_cndmask_b32 v34, -1, v34, s[58:59]               // LDD clip if OOB. offset
/* (d1,vc1,d0,vc0)=(0,0,2,1) */
s_mov_b32 s54, 129                                 // coordOffset0 d0=2 vc0=1
_v_add_co_u32 v4, vcc, v0, s54                     // coord0.2: coord0 += d0*sg0*VW + vc0
	;; [unrolled: 8-line block ×8, first 2 shown]
v_cmp_lt_u32 s[54:55], v4, s[sgprSizeI]            // coord0 < size0
v_cmp_lt_u32 s[58:59], v1, s[sgprSizeJ]            // coord1 < size1
s_and_b64 s[58:59], s[54:55], s[58:59]             // in0 && in1
_v_add_lshl_u32 v55, v3, v4, 0x1                   // scaleToBpe: accumulate d0 lower and *= bpe into Cin addr
v_cndmask_b32 v55, -1, v55, s[58:59]               // LDD clip if OOB. offset
/* (d1,vc1,d0,vc0)=(0,1,0,0) */
_v_add_co_u32 v1, vcc, v1, 1                       // coord1.1: coord1Vgpr += d1*sg1*VW + vc1

/* Fix for UseInitialStridesCD, emitAddressSetupCode */
_v_add_u32 v2, v2, s[sgprStrideC1J]                // ROWINC- Move cinRowPtr to next row
_v_add_u32 v3, v3, s[sgprStrideD1J]                // Move coutRowPtr to next row
v_cmp_lt_u32 s[54:55], v0, s[sgprSizeI]            // coord0 < size0
v_cmp_lt_u32 s[58:59], v1, s[sgprSizeJ]            // coord1 < size1
s_and_b64 s[58:59], s[54:55], s[58:59]             // in0 && in1
_v_add_lshl_u32 v58, v3, v0, 0x1                   // scaleToBpe: accumulate d0 lower and *= bpe into Cin addr
v_cndmask_b32 v58, -1, v58, s[58:59]               // LDD clip if OOB. offset
/* (d1,vc1,d0,vc0)=(0,1,0,1) */
_v_add_co_u32 v4, vcc, v0, 1                       // coord0.1: coord0 += d0*sg0*VW + vc0
v_cmp_lt_u32 s[54:55], v4, s[sgprSizeI]            // coord0 < size0
v_cmp_lt_u32 s[58:59], v1, s[sgprSizeJ]            // coord1 < size1
s_and_b64 s[58:59], s[54:55], s[58:59]             // in0 && in1
_v_add_lshl_u32 v61, v3, v4, 0x1                   // scaleToBpe: accumulate d0 lower and *= bpe into Cin addr
v_cndmask_b32 v61, -1, v61, s[58:59]               // LDD clip if OOB. offset
/* (d1,vc1,d0,vc0)=(0,1,0,2) */
_v_add_co_u32 v4, vcc, v0, 2                       // coord0.1: coord0 += d0*sg0*VW + vc0
	;; [unrolled: 7-line block ×3, first 2 shown]
v_cmp_lt_u32 s[54:55], v4, s[sgprSizeI]            // coord0 < size0
v_cmp_lt_u32 s[58:59], v1, s[sgprSizeJ]            // coord1 < size1
s_and_b64 s[58:59], s[54:55], s[58:59]             // in0 && in1
_v_add_lshl_u32 v67, v3, v4, 0x1                   // scaleToBpe: accumulate d0 lower and *= bpe into Cin addr
v_cndmask_b32 v67, -1, v67, s[58:59]               // LDD clip if OOB. offset
/* (d1,vc1,d0,vc0)=(0,1,1,0) */
_v_add_co_u32 v4, vcc, v0, 64                      // coord0.1: coord0 += d0*sg0*VW + vc0
v_cmp_lt_u32 s[54:55], v4, s[sgprSizeI]            // coord0 < size0
v_cmp_lt_u32 s[58:59], v1, s[sgprSizeJ]            // coord1 < size1
s_and_b64 s[58:59], s[54:55], s[58:59]             // in0 && in1
_v_add_lshl_u32 v70, v3, v4, 0x1                   // scaleToBpe: accumulate d0 lower and *= bpe into Cin addr
v_cndmask_b32 v70, -1, v70, s[58:59]               // LDD clip if OOB. offset
/* (d1,vc1,d0,vc0)=(0,1,1,1) */
s_mov_b32 s54, 65                                  // coordOffset0 d0=1 vc0=1
_v_add_co_u32 v4, vcc, v0, s54                     // coord0.2: coord0 += d0*sg0*VW + vc0
v_cmp_lt_u32 s[54:55], v4, s[sgprSizeI]            // coord0 < size0
v_cmp_lt_u32 s[58:59], v1, s[sgprSizeJ]            // coord1 < size1
s_and_b64 s[58:59], s[54:55], s[58:59]             // in0 && in1
_v_add_lshl_u32 v73, v3, v4, 0x1                   // scaleToBpe: accumulate d0 lower and *= bpe into Cin addr
v_cndmask_b32 v73, -1, v73, s[58:59]               // LDD clip if OOB. offset
/* (d1,vc1,d0,vc0)=(0,1,1,2) */
s_mov_b32 s54, 66                                  // coordOffset0 d0=1 vc0=2
_v_add_co_u32 v4, vcc, v0, s54                     // coord0.2: coord0 += d0*sg0*VW + vc0
	;; [unrolled: 8-line block ×3, first 2 shown]
v_cmp_lt_u32 s[54:55], v4, s[sgprSizeI]            // coord0 < size0
v_cmp_lt_u32 s[58:59], v1, s[sgprSizeJ]            // coord1 < size1
s_and_b64 s[58:59], s[54:55], s[58:59]             // in0 && in1
_v_add_lshl_u32 v79, v3, v4, 0x1                   // scaleToBpe: accumulate d0 lower and *= bpe into Cin addr
v_cndmask_b32 v79, -1, v79, s[58:59]               // LDD clip if OOB. offset
/* (d1,vc1,d0,vc0)=(0,1,2,0) */
s_mov_b32 s54, 128                                 // coordOffset0 d0=2 vc0=0
_v_add_co_u32 v4, vcc, v0, s54                     // coord0.2: coord0 += d0*sg0*VW + vc0
v_cmp_lt_u32 s[54:55], v4, s[sgprSizeI]            // coord0 < size0
v_cmp_lt_u32 s[58:59], v1, s[sgprSizeJ]            // coord1 < size1
s_and_b64 s[58:59], s[54:55], s[58:59]             // in0 && in1
_v_add_lshl_u32 v82, v3, v4, 0x1                   // scaleToBpe: accumulate d0 lower and *= bpe into Cin addr
v_cndmask_b32 v82, -1, v82, s[58:59]               // LDD clip if OOB. offset
/* (d1,vc1,d0,vc0)=(0,1,2,1) */
s_mov_b32 s54, 129                                 // coordOffset0 d0=2 vc0=1
_v_add_co_u32 v4, vcc, v0, s54                     // coord0.2: coord0 += d0*sg0*VW + vc0
	;; [unrolled: 8-line block ×7, first 2 shown]
v_cmp_lt_u32 s[54:55], v4, s[sgprSizeI]            // coord0 < size0
v_cmp_lt_u32 s[58:59], v1, s[sgprSizeJ]            // coord1 < size1
s_and_b64 s[58:59], s[54:55], s[58:59]             // in0 && in1
_v_add_lshl_u32 v100, v3, v4, 0x1                  // scaleToBpe: accumulate d0 lower and *= bpe into Cin addr
v_cndmask_b32 v100, -1, v100, s[58:59]             // LDD clip if OOB. offset
/* (d1,vc1,d0,vc0)=(0,1,3,3) */
s_mov_b32 s54, 195                                 // coordOffset0 d0=3 vc0=3
_v_add_co_u32 v4, vcc, v0, s54                     // coord0.2: coord0 += d0*sg0*VW + vc0
v_cmp_lt_u32 s[54:55], v4, s[sgprSizeI]            // coord0 < size0
v_cmp_lt_u32 s[58:59], v1, s[sgprSizeJ]            // coord1 < size1
s_and_b64 s[58:59], s[54:55], s[58:59]             // in0 && in1
_v_add_lshl_u32 v103, v3, v4, 0x1                  // scaleToBpe: accumulate d0 lower and *= bpe into Cin addr
v_cndmask_b32 v103, -1, v103, s[58:59]             // LDD clip if OOB. offset
/* (d1,vc1,d0,vc0)=(0,2,0,0) */
_v_add_co_u32 v1, vcc, v1, 1                       // coord1.1: coord1Vgpr += d1*sg1*VW + vc1

/* Fix for UseInitialStridesCD, emitAddressSetupCode */
_v_add_u32 v2, v2, s[sgprStrideC1J]                // ROWINC- Move cinRowPtr to next row
_v_add_u32 v3, v3, s[sgprStrideD1J]                // Move coutRowPtr to next row
v_cmp_lt_u32 s[54:55], v0, s[sgprSizeI]            // coord0 < size0
v_cmp_lt_u32 s[58:59], v1, s[sgprSizeJ]            // coord1 < size1
s_and_b64 s[58:59], s[54:55], s[58:59]             // in0 && in1
_v_add_lshl_u32 v106, v3, v0, 0x1                  // scaleToBpe: accumulate d0 lower and *= bpe into Cin addr
v_cndmask_b32 v106, -1, v106, s[58:59]             // LDD clip if OOB. offset
/* (d1,vc1,d0,vc0)=(0,2,0,1) */
_v_add_co_u32 v4, vcc, v0, 1                       // coord0.1: coord0 += d0*sg0*VW + vc0
v_cmp_lt_u32 s[54:55], v4, s[sgprSizeI]            // coord0 < size0
v_cmp_lt_u32 s[58:59], v1, s[sgprSizeJ]            // coord1 < size1
s_and_b64 s[58:59], s[54:55], s[58:59]             // in0 && in1
_v_add_lshl_u32 v109, v3, v4, 0x1                  // scaleToBpe: accumulate d0 lower and *= bpe into Cin addr
v_cndmask_b32 v109, -1, v109, s[58:59]             // LDD clip if OOB. offset
/* (d1,vc1,d0,vc0)=(0,2,0,2) */
_v_add_co_u32 v4, vcc, v0, 2                       // coord0.1: coord0 += d0*sg0*VW + vc0
	;; [unrolled: 7-line block ×3, first 2 shown]
v_cmp_lt_u32 s[54:55], v4, s[sgprSizeI]            // coord0 < size0
v_cmp_lt_u32 s[58:59], v1, s[sgprSizeJ]            // coord1 < size1
s_and_b64 s[58:59], s[54:55], s[58:59]             // in0 && in1
_v_add_lshl_u32 v115, v3, v4, 0x1                  // scaleToBpe: accumulate d0 lower and *= bpe into Cin addr
v_cndmask_b32 v115, -1, v115, s[58:59]             // LDD clip if OOB. offset
/* (d1,vc1,d0,vc0)=(0,2,1,0) */
_v_add_co_u32 v4, vcc, v0, 64                      // coord0.1: coord0 += d0*sg0*VW + vc0
v_cmp_lt_u32 s[54:55], v4, s[sgprSizeI]            // coord0 < size0
v_cmp_lt_u32 s[58:59], v1, s[sgprSizeJ]            // coord1 < size1
s_and_b64 s[58:59], s[54:55], s[58:59]             // in0 && in1
_v_add_lshl_u32 v121, v3, v4, 0x1                  // scaleToBpe: accumulate d0 lower and *= bpe into Cin addr
v_cndmask_b32 v121, -1, v121, s[58:59]             // LDD clip if OOB. offset
/* (d1,vc1,d0,vc0)=(0,2,1,1) */
s_mov_b32 s54, 65                                  // coordOffset0 d0=1 vc0=1
_v_add_co_u32 v4, vcc, v0, s54                     // coord0.2: coord0 += d0*sg0*VW + vc0
v_cmp_lt_u32 s[54:55], v4, s[sgprSizeI]            // coord0 < size0
v_cmp_lt_u32 s[58:59], v1, s[sgprSizeJ]            // coord1 < size1
s_and_b64 s[58:59], s[54:55], s[58:59]             // in0 && in1
_v_add_lshl_u32 v124, v3, v4, 0x1                  // scaleToBpe: accumulate d0 lower and *= bpe into Cin addr
v_cndmask_b32 v124, -1, v124, s[58:59]             // LDD clip if OOB. offset
/* (d1,vc1,d0,vc0)=(0,2,1,2) */
s_mov_b32 s54, 66                                  // coordOffset0 d0=1 vc0=2
_v_add_co_u32 v4, vcc, v0, s54                     // coord0.2: coord0 += d0*sg0*VW + vc0
	;; [unrolled: 8-line block ×3, first 2 shown]
v_cmp_lt_u32 s[54:55], v4, s[sgprSizeI]            // coord0 < size0
v_cmp_lt_u32 s[58:59], v1, s[sgprSizeJ]            // coord1 < size1
s_and_b64 s[58:59], s[54:55], s[58:59]             // in0 && in1
_v_add_lshl_u32 v130, v3, v4, 0x1                  // scaleToBpe: accumulate d0 lower and *= bpe into Cin addr
v_cndmask_b32 v130, -1, v130, s[58:59]             // LDD clip if OOB. offset
/* (d1,vc1,d0,vc0)=(0,2,2,0) */
s_mov_b32 s54, 128                                 // coordOffset0 d0=2 vc0=0
_v_add_co_u32 v4, vcc, v0, s54                     // coord0.2: coord0 += d0*sg0*VW + vc0
v_cmp_lt_u32 s[54:55], v4, s[sgprSizeI]            // coord0 < size0
v_cmp_lt_u32 s[58:59], v1, s[sgprSizeJ]            // coord1 < size1
s_and_b64 s[58:59], s[54:55], s[58:59]             // in0 && in1
_v_add_lshl_u32 v133, v3, v4, 0x1                  // scaleToBpe: accumulate d0 lower and *= bpe into Cin addr
v_cndmask_b32 v133, -1, v133, s[58:59]             // LDD clip if OOB. offset
/* (d1,vc1,d0,vc0)=(0,2,2,1) */
s_mov_b32 s54, 129                                 // coordOffset0 d0=2 vc0=1
_v_add_co_u32 v4, vcc, v0, s54                     // coord0.2: coord0 += d0*sg0*VW + vc0
	;; [unrolled: 8-line block ×8, first 2 shown]
v_cmp_lt_u32 s[54:55], v4, s[sgprSizeI]            // coord0 < size0
v_cmp_lt_u32 s[58:59], v1, s[sgprSizeJ]            // coord1 < size1
s_and_b64 s[58:59], s[54:55], s[58:59]             // in0 && in1
_v_add_lshl_u32 v154, v3, v4, 0x1                  // scaleToBpe: accumulate d0 lower and *= bpe into Cin addr
v_cndmask_b32 v154, -1, v154, s[58:59]             // LDD clip if OOB. offset
/* (d1,vc1,d0,vc0)=(0,3,0,0) */
_v_add_co_u32 v1, vcc, v1, 1                       // coord1.1: coord1Vgpr += d1*sg1*VW + vc1

/* Fix for UseInitialStridesCD, emitAddressSetupCode */
_v_add_u32 v2, v2, s[sgprStrideC1J]                // ROWINC- Move cinRowPtr to next row
_v_add_u32 v3, v3, s[sgprStrideD1J]                // Move coutRowPtr to next row
v_cmp_lt_u32 s[54:55], v0, s[sgprSizeI]            // coord0 < size0
v_cmp_lt_u32 s[58:59], v1, s[sgprSizeJ]            // coord1 < size1
s_and_b64 s[58:59], s[54:55], s[58:59]             // in0 && in1
_v_add_lshl_u32 v157, v3, v0, 0x1                  // scaleToBpe: accumulate d0 lower and *= bpe into Cin addr
v_cndmask_b32 v157, -1, v157, s[58:59]             // LDD clip if OOB. offset
/* (d1,vc1,d0,vc0)=(0,3,0,1) */
_v_add_co_u32 v4, vcc, v0, 1                       // coord0.1: coord0 += d0*sg0*VW + vc0
v_cmp_lt_u32 s[54:55], v4, s[sgprSizeI]            // coord0 < size0
v_cmp_lt_u32 s[58:59], v1, s[sgprSizeJ]            // coord1 < size1
s_and_b64 s[58:59], s[54:55], s[58:59]             // in0 && in1
_v_add_lshl_u32 v160, v3, v4, 0x1                  // scaleToBpe: accumulate d0 lower and *= bpe into Cin addr
v_cndmask_b32 v160, -1, v160, s[58:59]             // LDD clip if OOB. offset
/* (d1,vc1,d0,vc0)=(0,3,0,2) */
_v_add_co_u32 v4, vcc, v0, 2                       // coord0.1: coord0 += d0*sg0*VW + vc0
	;; [unrolled: 7-line block ×3, first 2 shown]
v_cmp_lt_u32 s[54:55], v4, s[sgprSizeI]            // coord0 < size0
v_cmp_lt_u32 s[58:59], v1, s[sgprSizeJ]            // coord1 < size1
s_and_b64 s[58:59], s[54:55], s[58:59]             // in0 && in1
_v_add_lshl_u32 v166, v3, v4, 0x1                  // scaleToBpe: accumulate d0 lower and *= bpe into Cin addr
v_cndmask_b32 v166, -1, v166, s[58:59]             // LDD clip if OOB. offset
/* (d1,vc1,d0,vc0)=(0,3,1,0) */
_v_add_co_u32 v4, vcc, v0, 64                      // coord0.1: coord0 += d0*sg0*VW + vc0
v_cmp_lt_u32 s[54:55], v4, s[sgprSizeI]            // coord0 < size0
v_cmp_lt_u32 s[58:59], v1, s[sgprSizeJ]            // coord1 < size1
s_and_b64 s[58:59], s[54:55], s[58:59]             // in0 && in1
_v_add_lshl_u32 v169, v3, v4, 0x1                  // scaleToBpe: accumulate d0 lower and *= bpe into Cin addr
v_cndmask_b32 v169, -1, v169, s[58:59]             // LDD clip if OOB. offset
/* (d1,vc1,d0,vc0)=(0,3,1,1) */
s_mov_b32 s54, 65                                  // coordOffset0 d0=1 vc0=1
_v_add_co_u32 v4, vcc, v0, s54                     // coord0.2: coord0 += d0*sg0*VW + vc0
v_cmp_lt_u32 s[54:55], v4, s[sgprSizeI]            // coord0 < size0
v_cmp_lt_u32 s[58:59], v1, s[sgprSizeJ]            // coord1 < size1
s_and_b64 s[58:59], s[54:55], s[58:59]             // in0 && in1
_v_add_lshl_u32 v172, v3, v4, 0x1                  // scaleToBpe: accumulate d0 lower and *= bpe into Cin addr
v_cndmask_b32 v172, -1, v172, s[58:59]             // LDD clip if OOB. offset
/* (d1,vc1,d0,vc0)=(0,3,1,2) */
s_mov_b32 s54, 66                                  // coordOffset0 d0=1 vc0=2
_v_add_co_u32 v4, vcc, v0, s54                     // coord0.2: coord0 += d0*sg0*VW + vc0
	;; [unrolled: 8-line block ×3, first 2 shown]
v_cmp_lt_u32 s[54:55], v4, s[sgprSizeI]            // coord0 < size0
v_cmp_lt_u32 s[58:59], v1, s[sgprSizeJ]            // coord1 < size1
s_and_b64 s[58:59], s[54:55], s[58:59]             // in0 && in1
_v_add_lshl_u32 v178, v3, v4, 0x1                  // scaleToBpe: accumulate d0 lower and *= bpe into Cin addr
v_cndmask_b32 v178, -1, v178, s[58:59]             // LDD clip if OOB. offset
/* (d1,vc1,d0,vc0)=(0,3,2,0) */
s_mov_b32 s54, 128                                 // coordOffset0 d0=2 vc0=0
_v_add_co_u32 v4, vcc, v0, s54                     // coord0.2: coord0 += d0*sg0*VW + vc0
v_cmp_lt_u32 s[54:55], v4, s[sgprSizeI]            // coord0 < size0
v_cmp_lt_u32 s[58:59], v1, s[sgprSizeJ]            // coord1 < size1
s_and_b64 s[58:59], s[54:55], s[58:59]             // in0 && in1
_v_add_lshl_u32 v181, v3, v4, 0x1                  // scaleToBpe: accumulate d0 lower and *= bpe into Cin addr
v_cndmask_b32 v181, -1, v181, s[58:59]             // LDD clip if OOB. offset
/* (d1,vc1,d0,vc0)=(0,3,2,1) */
s_mov_b32 s54, 129                                 // coordOffset0 d0=2 vc0=1
_v_add_co_u32 v4, vcc, v0, s54                     // coord0.2: coord0 += d0*sg0*VW + vc0
	;; [unrolled: 8-line block ×8, first 2 shown]
v_cmp_lt_u32 s[54:55], v4, s[sgprSizeI]            // coord0 < size0
v_cmp_lt_u32 s[58:59], v1, s[sgprSizeJ]            // coord1 < size1
s_and_b64 s[58:59], s[54:55], s[58:59]             // in0 && in1
_v_add_lshl_u32 v202, v3, v4, 0x1                  // scaleToBpe: accumulate d0 lower and *= bpe into Cin addr
v_cndmask_b32 v202, -1, v202, s[58:59]             // LDD clip if OOB. offset
/* (d1,vc1,d0,vc0)=(1,0,0,0) */
_v_add_co_u32 v1, vcc, v1, 61                      // coord1.1: coord1Vgpr += d1*sg1*VW + vc1

/* Fix for UseInitialStridesCD, emitAddressSetupCode */
s_mul_i32 s54, s[sgprStrideC1J], 61                // scale stride
_v_add_u32 v2, v2, s54                             // ROWINC- Move cinRowPtr to next row
s_mul_i32 s54, s[sgprStrideD1J], 61                // scale stride
_v_add_u32 v3, v3, s54                             // Move coutRowPtr to next row
v_cmp_lt_u32 s[54:55], v0, s[sgprSizeI]            // coord0 < size0
v_cmp_lt_u32 s[58:59], v1, s[sgprSizeJ]            // coord1 < size1
s_and_b64 s[58:59], s[54:55], s[58:59]             // in0 && in1
_v_add_lshl_u32 v205, v3, v0, 0x1                  // scaleToBpe: accumulate d0 lower and *= bpe into Cin addr
v_cndmask_b32 v205, -1, v205, s[58:59]             // LDD clip if OOB. offset
/* (d1,vc1,d0,vc0)=(1,0,0,1) */
_v_add_co_u32 v4, vcc, v0, 1                       // coord0.1: coord0 += d0*sg0*VW + vc0
v_cmp_lt_u32 s[54:55], v4, s[sgprSizeI]            // coord0 < size0
v_cmp_lt_u32 s[58:59], v1, s[sgprSizeJ]            // coord1 < size1
s_and_b64 s[58:59], s[54:55], s[58:59]             // in0 && in1
_v_add_lshl_u32 v208, v3, v4, 0x1                  // scaleToBpe: accumulate d0 lower and *= bpe into Cin addr
v_cndmask_b32 v208, -1, v208, s[58:59]             // LDD clip if OOB. offset
/* (d1,vc1,d0,vc0)=(1,0,0,2) */
_v_add_co_u32 v4, vcc, v0, 2                       // coord0.1: coord0 += d0*sg0*VW + vc0
	;; [unrolled: 7-line block ×3, first 2 shown]
v_cmp_lt_u32 s[54:55], v4, s[sgprSizeI]            // coord0 < size0
v_cmp_lt_u32 s[58:59], v1, s[sgprSizeJ]            // coord1 < size1
s_and_b64 s[58:59], s[54:55], s[58:59]             // in0 && in1
_v_add_lshl_u32 v214, v3, v4, 0x1                  // scaleToBpe: accumulate d0 lower and *= bpe into Cin addr
v_cndmask_b32 v214, -1, v214, s[58:59]             // LDD clip if OOB. offset
/* (d1,vc1,d0,vc0)=(1,0,1,0) */
_v_add_co_u32 v4, vcc, v0, 64                      // coord0.1: coord0 += d0*sg0*VW + vc0
v_cmp_lt_u32 s[54:55], v4, s[sgprSizeI]            // coord0 < size0
v_cmp_lt_u32 s[58:59], v1, s[sgprSizeJ]            // coord1 < size1
s_and_b64 s[58:59], s[54:55], s[58:59]             // in0 && in1
_v_add_lshl_u32 v217, v3, v4, 0x1                  // scaleToBpe: accumulate d0 lower and *= bpe into Cin addr
v_cndmask_b32 v217, -1, v217, s[58:59]             // LDD clip if OOB. offset
/* (d1,vc1,d0,vc0)=(1,0,1,1) */
s_mov_b32 s54, 65                                  // coordOffset0 d0=1 vc0=1
_v_add_co_u32 v4, vcc, v0, s54                     // coord0.2: coord0 += d0*sg0*VW + vc0
v_cmp_lt_u32 s[54:55], v4, s[sgprSizeI]            // coord0 < size0
v_cmp_lt_u32 s[58:59], v1, s[sgprSizeJ]            // coord1 < size1
s_and_b64 s[58:59], s[54:55], s[58:59]             // in0 && in1
_v_add_lshl_u32 v220, v3, v4, 0x1                  // scaleToBpe: accumulate d0 lower and *= bpe into Cin addr
v_cndmask_b32 v220, -1, v220, s[58:59]             // LDD clip if OOB. offset
/* (d1,vc1,d0,vc0)=(1,0,1,2) */
s_mov_b32 s54, 66                                  // coordOffset0 d0=1 vc0=2
_v_add_co_u32 v4, vcc, v0, s54                     // coord0.2: coord0 += d0*sg0*VW + vc0
	;; [unrolled: 8-line block ×3, first 2 shown]
v_cmp_lt_u32 s[54:55], v4, s[sgprSizeI]            // coord0 < size0
v_cmp_lt_u32 s[58:59], v1, s[sgprSizeJ]            // coord1 < size1
s_and_b64 s[58:59], s[54:55], s[58:59]             // in0 && in1
_v_add_lshl_u32 v226, v3, v4, 0x1                  // scaleToBpe: accumulate d0 lower and *= bpe into Cin addr
v_cndmask_b32 v226, -1, v226, s[58:59]             // LDD clip if OOB. offset
/* (d1,vc1,d0,vc0)=(1,0,2,0) */
s_mov_b32 s54, 128                                 // coordOffset0 d0=2 vc0=0
_v_add_co_u32 v4, vcc, v0, s54                     // coord0.2: coord0 += d0*sg0*VW + vc0
v_cmp_lt_u32 s[54:55], v4, s[sgprSizeI]            // coord0 < size0
v_cmp_lt_u32 s[58:59], v1, s[sgprSizeJ]            // coord1 < size1
s_and_b64 s[58:59], s[54:55], s[58:59]             // in0 && in1
_v_add_lshl_u32 v229, v3, v4, 0x1                  // scaleToBpe: accumulate d0 lower and *= bpe into Cin addr
v_cndmask_b32 v229, -1, v229, s[58:59]             // LDD clip if OOB. offset
/* (d1,vc1,d0,vc0)=(1,0,2,1) */
s_mov_b32 s54, 129                                 // coordOffset0 d0=2 vc0=1
_v_add_co_u32 v4, vcc, v0, s54                     // coord0.2: coord0 += d0*sg0*VW + vc0
	;; [unrolled: 8-line block ×8, first 2 shown]
v_cmp_lt_u32 s[54:55], v4, s[sgprSizeI]            // coord0 < size0
v_cmp_lt_u32 s[58:59], v1, s[sgprSizeJ]            // coord1 < size1
s_and_b64 s[58:59], s[54:55], s[58:59]             // in0 && in1
_v_add_lshl_u32 v250, v3, v4, 0x1                  // scaleToBpe: accumulate d0 lower and *= bpe into Cin addr
v_cndmask_b32 v250, -1, v250, s[58:59]             // LDD clip if OOB. offset
v_accvgpr_read_b32 v[vgprValuC+12], acc0 // copy acc to vreg[0]
v_accvgpr_read_b32 v[vgprValuC+15], acc4 // copy acc to vreg[1]
v_accvgpr_read_b32 v[vgprValuC+18], acc8 // copy acc to vreg[2]
v_accvgpr_read_b32 v[vgprValuC+21], acc12 // copy acc to vreg[3]
v_accvgpr_read_b32 v[vgprValuC+24], acc16 // copy acc to vreg[4]
v_accvgpr_read_b32 v[vgprValuC+27], acc20 // copy acc to vreg[5]
v_accvgpr_read_b32 v[vgprValuC+30], acc24 // copy acc to vreg[6]
v_accvgpr_read_b32 v[vgprValuC+33], acc28 // copy acc to vreg[7]
v_accvgpr_read_b32 v[vgprValuC+36], acc32 // copy acc to vreg[8]
v_accvgpr_read_b32 v[vgprValuC+39], acc36 // copy acc to vreg[9]
v_accvgpr_read_b32 v[vgprValuC+42], acc40 // copy acc to vreg[10]
v_accvgpr_read_b32 v[vgprValuC+45], acc44 // copy acc to vreg[11]
v_accvgpr_read_b32 v[vgprValuC+48], acc48 // copy acc to vreg[12]
v_accvgpr_read_b32 v[vgprValuC+51], acc52 // copy acc to vreg[13]
v_accvgpr_read_b32 v[vgprValuC+54], acc56 // copy acc to vreg[14]
v_accvgpr_read_b32 v[vgprValuC+57], acc60 // copy acc to vreg[15]
v_accvgpr_read_b32 v[vgprValuC+60], acc1 // copy acc to vreg[16]
v_accvgpr_read_b32 v[vgprValuC+63], acc5 // copy acc to vreg[17]
v_accvgpr_read_b32 v[vgprValuC+66], acc9 // copy acc to vreg[18]
v_accvgpr_read_b32 v[vgprValuC+69], acc13 // copy acc to vreg[19]
v_accvgpr_read_b32 v[vgprValuC+72], acc17 // copy acc to vreg[20]
v_accvgpr_read_b32 v[vgprValuC+75], acc21 // copy acc to vreg[21]
v_accvgpr_read_b32 v[vgprValuC+78], acc25 // copy acc to vreg[22]
v_accvgpr_read_b32 v[vgprValuC+81], acc29 // copy acc to vreg[23]
v_accvgpr_read_b32 v[vgprValuC+84], acc33 // copy acc to vreg[24]
v_accvgpr_read_b32 v[vgprValuC+87], acc37 // copy acc to vreg[25]
v_accvgpr_read_b32 v[vgprValuC+90], acc41 // copy acc to vreg[26]
v_accvgpr_read_b32 v[vgprValuC+93], acc45 // copy acc to vreg[27]
v_accvgpr_read_b32 v[vgprValuC+96], acc49 // copy acc to vreg[28]
v_accvgpr_read_b32 v[vgprValuC+99], acc53 // copy acc to vreg[29]
v_accvgpr_read_b32 v[vgprValuC+102], acc57 // copy acc to vreg[30]
v_accvgpr_read_b32 v[vgprValuC+105], acc61 // copy acc to vreg[31]
v_accvgpr_read_b32 v[vgprValuC+108], acc2 // copy acc to vreg[32]
v_accvgpr_read_b32 v[vgprValuC+111], acc6 // copy acc to vreg[33]
v_accvgpr_read_b32 v[vgprValuC+114], acc10 // copy acc to vreg[34]
v_accvgpr_read_b32 v[vgprValuC+120], acc14 // copy acc to vreg[35]
v_accvgpr_read_b32 v[vgprValuC+123], acc18 // copy acc to vreg[36]
v_accvgpr_read_b32 v[vgprValuC+126], acc22 // copy acc to vreg[37]
v_accvgpr_read_b32 v[vgprValuC+129], acc26 // copy acc to vreg[38]
v_accvgpr_read_b32 v[vgprValuC+132], acc30 // copy acc to vreg[39]
v_accvgpr_read_b32 v[vgprValuC+135], acc34 // copy acc to vreg[40]
v_accvgpr_read_b32 v[vgprValuC+138], acc38 // copy acc to vreg[41]
v_accvgpr_read_b32 v[vgprValuC+141], acc42 // copy acc to vreg[42]
v_accvgpr_read_b32 v[vgprValuC+144], acc46 // copy acc to vreg[43]
v_accvgpr_read_b32 v[vgprValuC+147], acc50 // copy acc to vreg[44]
v_accvgpr_read_b32 v[vgprValuC+150], acc54 // copy acc to vreg[45]
v_accvgpr_read_b32 v[vgprValuC+153], acc58 // copy acc to vreg[46]
v_accvgpr_read_b32 v[vgprValuC+156], acc62 // copy acc to vreg[47]
v_accvgpr_read_b32 v[vgprValuC+159], acc3 // copy acc to vreg[48]
v_accvgpr_read_b32 v[vgprValuC+162], acc7 // copy acc to vreg[49]
v_accvgpr_read_b32 v[vgprValuC+165], acc11 // copy acc to vreg[50]
v_accvgpr_read_b32 v[vgprValuC+168], acc15 // copy acc to vreg[51]
v_accvgpr_read_b32 v[vgprValuC+171], acc19 // copy acc to vreg[52]
v_accvgpr_read_b32 v[vgprValuC+174], acc23 // copy acc to vreg[53]
v_accvgpr_read_b32 v[vgprValuC+177], acc27 // copy acc to vreg[54]
v_accvgpr_read_b32 v[vgprValuC+180], acc31 // copy acc to vreg[55]
v_accvgpr_read_b32 v[vgprValuC+183], acc35 // copy acc to vreg[56]
v_accvgpr_read_b32 v[vgprValuC+186], acc39 // copy acc to vreg[57]
v_accvgpr_read_b32 v[vgprValuC+189], acc43 // copy acc to vreg[58]
v_accvgpr_read_b32 v[vgprValuC+192], acc47 // copy acc to vreg[59]
v_accvgpr_read_b32 v[vgprValuC+195], acc51 // copy acc to vreg[60]
v_accvgpr_read_b32 v[vgprValuC+198], acc55 // copy acc to vreg[61]
v_accvgpr_read_b32 v[vgprValuC+201], acc59 // copy acc to vreg[62]
v_accvgpr_read_b32 v[vgprValuC+204], acc63 // copy acc to vreg[63]
v_accvgpr_read_b32 v[vgprValuC+207], acc64 // copy acc to vreg[64]
v_accvgpr_read_b32 v[vgprValuC+210], acc68 // copy acc to vreg[65]
v_accvgpr_read_b32 v[vgprValuC+213], acc72 // copy acc to vreg[66]
v_accvgpr_read_b32 v[vgprValuC+216], acc76 // copy acc to vreg[67]
v_accvgpr_read_b32 v[vgprValuC+219], acc80 // copy acc to vreg[68]
v_accvgpr_read_b32 v[vgprValuC+222], acc84 // copy acc to vreg[69]
v_accvgpr_read_b32 v[vgprValuC+225], acc88 // copy acc to vreg[70]
v_accvgpr_read_b32 v[vgprValuC+228], acc92 // copy acc to vreg[71]
v_accvgpr_read_b32 v[vgprValuC+231], acc96 // copy acc to vreg[72]
v_accvgpr_read_b32 v[vgprValuC+234], acc100 // copy acc to vreg[73]
v_accvgpr_read_b32 v[vgprValuC+237], acc104 // copy acc to vreg[74]
v_accvgpr_read_b32 v[vgprValuC+240], acc108 // copy acc to vreg[75]
v_accvgpr_read_b32 v[vgprValuC+243], acc112 // copy acc to vreg[76]
v_accvgpr_read_b32 v[vgprValuC+246], acc116 // copy acc to vreg[77]
v_accvgpr_read_b32 v[vgprValuC+249], acc120 // copy acc to vreg[78]
v_accvgpr_read_b32 v[vgprValuC+252], acc124 // copy acc to vreg[79]
s_nop 1                                            // 2 wait states required before reading vgpr

/* rC *= alpha batchElements=[(0, 0, 0, 0), (0, 0, 0, 1), (0, 0, 0, 2), (0, 0, 0, 3), (0, 1, 0, 0), (0, 1, 0, 1), (0, 1, 0, 2), (0, 1, 0, 3), (0, 2, 0, 0), (0, 2, 0, 1), (0, 2, 0, 2), (0, 2, 0, 3), (0, 3, 0, 0), (0, 3, 0, 1), (0, 3, 0, 2), (0, 3, 0, 3), (0, 0, 1, 0), (0, 0, 1, 1), (0, 0, 1, 2), (0, 0, 1, 3), (0, 1, 1, 0), (0, 1, 1, 1), (0, 1, 1, 2), (0, 1, 1, 3), (0, 2, 1, 0), (0, 2, 1, 1), (0, 2, 1, 2), (0, 2, 1, 3), (0, 3, 1, 0), (0, 3, 1, 1), (0, 3, 1, 2), (0, 3, 1, 3), (0, 0, 2, 0), (0, 0, 2, 1), (0, 0, 2, 2), (0, 0, 2, 3), (0, 1, 2, 0), (0, 1, 2, 1), (0, 1, 2, 2), (0, 1, 2, 3), (0, 2, 2, 0), (0, 2, 2, 1), (0, 2, 2, 2), (0, 2, 2, 3), (0, 3, 2, 0), (0, 3, 2, 1), (0, 3, 2, 2), (0, 3, 2, 3), (0, 0, 3, 0), (0, 0, 3, 1), (0, 0, 3, 2), (0, 0, 3, 3), (0, 1, 3, 0), (0, 1, 3, 1), (0, 1, 3, 2), (0, 1, 3, 3), (0, 2, 3, 0), (0, 2, 3, 1), (0, 2, 3, 2), (0, 2, 3, 3), (0, 3, 3, 0), (0, 3, 3, 1), (0, 3, 3, 2), (0, 3, 3, 3), (1, 0, 0, 0), (1, 0, 0, 1), (1, 0, 0, 2), (1, 0, 0, 3), (1, 1, 0, 0), (1, 1, 0, 1), (1, 1, 0, 2), (1, 1, 0, 3), (1, 2, 0, 0), (1, 2, 0, 1), (1, 2, 0, 2), (1, 2, 0, 3), (1, 3, 0, 0), (1, 3, 0, 1), (1, 3, 0, 2), (1, 3, 0, 3)] */
v_mul_f32 v[vgprValuC+12], s[sgprAlpha], v[vgprValuC+12] // *= alpha
v_mul_f32 v[vgprValuC+15], s[sgprAlpha], v[vgprValuC+15] // *= alpha
	;; [unrolled: 1-line block ×80, first 2 shown]

/* apply mask, calc new C and issue writes */
v_mov_b32 v7, 0xffff0000                           // mask for pack two bfloat16 element to 32bit
v_mov_b32 v8, 0x7fff0000                           // fp32 Nan
v_mov_b32 v9, 0x7fff                               // rounding bias for bfloat16
v_cmp_u_f32 s[54:55], v[vgprValuC+12], v[vgprValuC+12] // check Nan
v_bfe_u32 v6, v[vgprValuC+12], 16, 1               // Non-Nan case: store lsb of bf16
v_add3_u32 v6, v[vgprValuC+12], v6, v9             // Non-Nan case: add lsb and the increment for rounding
v_cndmask_b32 v[vgprValuC+12], v6, v8, s[54:55]    // 
v_lshrrev_b32 v[vgprValuC+12], 16, v[vgprValuC+12] // convert C to bf16
v_cmp_u_f32 s[54:55], v[vgprValuC+15], v[vgprValuC+15] // check Nan
v_bfe_u32 v6, v[vgprValuC+15], 16, 1               // Non-Nan case: store lsb of bf16
v_add3_u32 v6, v[vgprValuC+15], v6, v9             // Non-Nan case: add lsb and the increment for rounding
v_cndmask_b32 v[vgprValuC+15], v6, v8, s[54:55]    // 
v_lshrrev_b32 v[vgprValuC+15], 16, v[vgprValuC+15] // convert C to bf16
	;; [unrolled: 5-line block ×30, first 2 shown]
v_cmp_u_f32 s[54:55], v[vgprValuC+102], v[vgprValuC+102] // check Nan
v_bfe_u32 v6, v[vgprValuC+102], 16, 1              // Non-Nan case: store lsb of bf16
v_add3_u32 v6, v[vgprValuC+102], v6, v9            // Non-Nan case: add lsb and the increment for rounding
v_cndmask_b32 v[vgprValuC+102], v6, v8, s[54:55]   // 
v_lshrrev_b32 v[vgprValuC+102], 16, v[vgprValuC+102] // convert C to bf16
v_cmp_u_f32 s[54:55], v[vgprValuC+105], v[vgprValuC+105] // check Nan
v_bfe_u32 v6, v[vgprValuC+105], 16, 1              // Non-Nan case: store lsb of bf16
v_add3_u32 v6, v[vgprValuC+105], v6, v9            // Non-Nan case: add lsb and the increment for rounding
v_cndmask_b32 v[vgprValuC+105], v6, v8, s[54:55]   // 
v_lshrrev_b32 v[vgprValuC+105], 16, v[vgprValuC+105] // convert C to bf16
	;; [unrolled: 5-line block ×50, first 2 shown]
_buffer_store_b16 v12, v10, s[sgprSrdD:sgprSrdD+3], 0, offen, offset:0,  sc0 sc1 // store D
_buffer_store_b16 v15, v13, s[sgprSrdD:sgprSrdD+3], 0, offen, offset:0,  sc0 sc1 // store D
	;; [unrolled: 1-line block ×80, first 2 shown]
s_nop 0                                            // 1 wait state required when next inst writes vgprs held by previous dwordx4 store inst
/* optSingleColVgpr=0 optSharedColVgpr=0 optSGPRUsage=BufferLoad_Edge_Mask optSrdIncForRow=0 */
s_sleep 5 // optimization: sync and wait
s_barrier

/******************************************/
/* Global Write Alpha Edge Batch #1 (d1,d0,vc1,vc0) = */
/*    (1,0,1,0:vw1); (1,0,1,1:vw1); (1,0,1,2:vw1); (1,0,1,3:vw1); (1,1,1,0:vw1); (1,1,1,1:vw1); (1,1,1,2:vw1); (1,1,1,3:vw1); (1,2,1,0:vw1); (1,2,1,1:vw1); (1,2,1,2:vw1); (1,2,1,3:vw1); (1,3,1,0:vw1); (1,3,1,1:vw1); (1,3,1,2:vw1); (1,3,1,3:vw1); (1,0,2,0:vw1); (1,0,2,1:vw1); (1,0,2,2:vw1); (1,0,2,3:vw1); (1,1,2,0:vw1); (1,1,2,1:vw1); (1,1,2,2:vw1); (1,1,2,3:vw1); (1,2,2,0:vw1); (1,2,2,1:vw1); (1,2,2,2:vw1); (1,2,2,3:vw1); (1,3,2,0:vw1); (1,3,2,1:vw1); (1,3,2,2:vw1); (1,3,2,3:vw1); (1,0,3,0:vw1); (1,0,3,1:vw1); (1,0,3,2:vw1); (1,0,3,3:vw1); (1,1,3,0:vw1); (1,1,3,1:vw1); (1,1,3,2:vw1); (1,1,3,3:vw1); (1,2,3,0:vw1); (1,2,3,1:vw1); (1,2,3,2:vw1); (1,2,3,3:vw1); (1,3,3,0:vw1); (1,3,3,1:vw1); (1,3,3,2:vw1); (1,3,3,3:vw1); (2,0,0,0:vw1); (2,0,0,1:vw1); (2,0,0,2:vw1); (2,0,0,3:vw1); (2,1,0,0:vw1); (2,1,0,1:vw1); (2,1,0,2:vw1); (2,1,0,3:vw1); (2,2,0,0:vw1); (2,2,0,1:vw1); (2,2,0,2:vw1); (2,2,0,3:vw1); (2,3,0,0:vw1); (2,3,0,1:vw1); (2,3,0,2:vw1); (2,3,0,3:vw1); (2,0,1,0:vw1); (2,0,1,1:vw1); (2,0,1,2:vw1); (2,0,1,3:vw1); (2,1,1,0:vw1); (2,1,1,1:vw1); (2,1,1,2:vw1); (2,1,1,3:vw1); (2,2,1,0:vw1); (2,2,1,1:vw1); (2,2,1,2:vw1); (2,2,1,3:vw1); (2,3,1,0:vw1); (2,3,1,1:vw1); (2,3,1,2:vw1); (2,3,1,3:vw1) */
/******************************************/

/* calc coords, apply mask, and issue loads (if necessary) */
/* (d1,vc1,d0,vc0)=(1,1,0,0) */
_v_add_co_u32 v1, vcc, v1, 1                       // coord1.1: coord1Vgpr += d1*sg1*VW + vc1

/* Fix for UseInitialStridesCD, emitAddressSetupCode */
_v_add_u32 v2, v2, s[sgprStrideC1J]                // ROWINC- Move cinRowPtr to next row
_v_add_u32 v3, v3, s[sgprStrideD1J]                // Move coutRowPtr to next row
v_cmp_lt_u32 s[54:55], v0, s[sgprSizeI]            // coord0 < size0
v_cmp_lt_u32 s[58:59], v1, s[sgprSizeJ]            // coord1 < size1
s_and_b64 s[58:59], s[54:55], s[58:59]             // in0 && in1
_v_add_lshl_u32 v10, v3, v0, 0x1                   // scaleToBpe: accumulate d0 lower and *= bpe into Cin addr
v_cndmask_b32 v10, -1, v10, s[58:59]               // LDD clip if OOB. offset
/* (d1,vc1,d0,vc0)=(1,1,0,1) */
_v_add_co_u32 v4, vcc, v0, 1                       // coord0.1: coord0 += d0*sg0*VW + vc0
v_cmp_lt_u32 s[54:55], v4, s[sgprSizeI]            // coord0 < size0
v_cmp_lt_u32 s[58:59], v1, s[sgprSizeJ]            // coord1 < size1
s_and_b64 s[58:59], s[54:55], s[58:59]             // in0 && in1
_v_add_lshl_u32 v13, v3, v4, 0x1                   // scaleToBpe: accumulate d0 lower and *= bpe into Cin addr
v_cndmask_b32 v13, -1, v13, s[58:59]               // LDD clip if OOB. offset
/* (d1,vc1,d0,vc0)=(1,1,0,2) */
_v_add_co_u32 v4, vcc, v0, 2                       // coord0.1: coord0 += d0*sg0*VW + vc0
	;; [unrolled: 7-line block ×3, first 2 shown]
v_cmp_lt_u32 s[54:55], v4, s[sgprSizeI]            // coord0 < size0
v_cmp_lt_u32 s[58:59], v1, s[sgprSizeJ]            // coord1 < size1
s_and_b64 s[58:59], s[54:55], s[58:59]             // in0 && in1
_v_add_lshl_u32 v19, v3, v4, 0x1                   // scaleToBpe: accumulate d0 lower and *= bpe into Cin addr
v_cndmask_b32 v19, -1, v19, s[58:59]               // LDD clip if OOB. offset
/* (d1,vc1,d0,vc0)=(1,1,1,0) */
_v_add_co_u32 v4, vcc, v0, 64                      // coord0.1: coord0 += d0*sg0*VW + vc0
v_cmp_lt_u32 s[54:55], v4, s[sgprSizeI]            // coord0 < size0
v_cmp_lt_u32 s[58:59], v1, s[sgprSizeJ]            // coord1 < size1
s_and_b64 s[58:59], s[54:55], s[58:59]             // in0 && in1
_v_add_lshl_u32 v22, v3, v4, 0x1                   // scaleToBpe: accumulate d0 lower and *= bpe into Cin addr
v_cndmask_b32 v22, -1, v22, s[58:59]               // LDD clip if OOB. offset
/* (d1,vc1,d0,vc0)=(1,1,1,1) */
s_mov_b32 s54, 65                                  // coordOffset0 d0=1 vc0=1
_v_add_co_u32 v4, vcc, v0, s54                     // coord0.2: coord0 += d0*sg0*VW + vc0
v_cmp_lt_u32 s[54:55], v4, s[sgprSizeI]            // coord0 < size0
v_cmp_lt_u32 s[58:59], v1, s[sgprSizeJ]            // coord1 < size1
s_and_b64 s[58:59], s[54:55], s[58:59]             // in0 && in1
_v_add_lshl_u32 v25, v3, v4, 0x1                   // scaleToBpe: accumulate d0 lower and *= bpe into Cin addr
v_cndmask_b32 v25, -1, v25, s[58:59]               // LDD clip if OOB. offset
/* (d1,vc1,d0,vc0)=(1,1,1,2) */
s_mov_b32 s54, 66                                  // coordOffset0 d0=1 vc0=2
_v_add_co_u32 v4, vcc, v0, s54                     // coord0.2: coord0 += d0*sg0*VW + vc0
	;; [unrolled: 8-line block ×3, first 2 shown]
v_cmp_lt_u32 s[54:55], v4, s[sgprSizeI]            // coord0 < size0
v_cmp_lt_u32 s[58:59], v1, s[sgprSizeJ]            // coord1 < size1
s_and_b64 s[58:59], s[54:55], s[58:59]             // in0 && in1
_v_add_lshl_u32 v31, v3, v4, 0x1                   // scaleToBpe: accumulate d0 lower and *= bpe into Cin addr
v_cndmask_b32 v31, -1, v31, s[58:59]               // LDD clip if OOB. offset
/* (d1,vc1,d0,vc0)=(1,1,2,0) */
s_mov_b32 s54, 128                                 // coordOffset0 d0=2 vc0=0
_v_add_co_u32 v4, vcc, v0, s54                     // coord0.2: coord0 += d0*sg0*VW + vc0
v_cmp_lt_u32 s[54:55], v4, s[sgprSizeI]            // coord0 < size0
v_cmp_lt_u32 s[58:59], v1, s[sgprSizeJ]            // coord1 < size1
s_and_b64 s[58:59], s[54:55], s[58:59]             // in0 && in1
_v_add_lshl_u32 v34, v3, v4, 0x1                   // scaleToBpe: accumulate d0 lower and *= bpe into Cin addr
v_cndmask_b32 v34, -1, v34, s[58:59]               // LDD clip if OOB. offset
/* (d1,vc1,d0,vc0)=(1,1,2,1) */
s_mov_b32 s54, 129                                 // coordOffset0 d0=2 vc0=1
_v_add_co_u32 v4, vcc, v0, s54                     // coord0.2: coord0 += d0*sg0*VW + vc0
	;; [unrolled: 8-line block ×8, first 2 shown]
v_cmp_lt_u32 s[54:55], v4, s[sgprSizeI]            // coord0 < size0
v_cmp_lt_u32 s[58:59], v1, s[sgprSizeJ]            // coord1 < size1
s_and_b64 s[58:59], s[54:55], s[58:59]             // in0 && in1
_v_add_lshl_u32 v55, v3, v4, 0x1                   // scaleToBpe: accumulate d0 lower and *= bpe into Cin addr
v_cndmask_b32 v55, -1, v55, s[58:59]               // LDD clip if OOB. offset
/* (d1,vc1,d0,vc0)=(1,2,0,0) */
_v_add_co_u32 v1, vcc, v1, 1                       // coord1.1: coord1Vgpr += d1*sg1*VW + vc1

/* Fix for UseInitialStridesCD, emitAddressSetupCode */
_v_add_u32 v2, v2, s[sgprStrideC1J]                // ROWINC- Move cinRowPtr to next row
_v_add_u32 v3, v3, s[sgprStrideD1J]                // Move coutRowPtr to next row
v_cmp_lt_u32 s[54:55], v0, s[sgprSizeI]            // coord0 < size0
v_cmp_lt_u32 s[58:59], v1, s[sgprSizeJ]            // coord1 < size1
s_and_b64 s[58:59], s[54:55], s[58:59]             // in0 && in1
_v_add_lshl_u32 v58, v3, v0, 0x1                   // scaleToBpe: accumulate d0 lower and *= bpe into Cin addr
v_cndmask_b32 v58, -1, v58, s[58:59]               // LDD clip if OOB. offset
/* (d1,vc1,d0,vc0)=(1,2,0,1) */
_v_add_co_u32 v4, vcc, v0, 1                       // coord0.1: coord0 += d0*sg0*VW + vc0
v_cmp_lt_u32 s[54:55], v4, s[sgprSizeI]            // coord0 < size0
v_cmp_lt_u32 s[58:59], v1, s[sgprSizeJ]            // coord1 < size1
s_and_b64 s[58:59], s[54:55], s[58:59]             // in0 && in1
_v_add_lshl_u32 v61, v3, v4, 0x1                   // scaleToBpe: accumulate d0 lower and *= bpe into Cin addr
v_cndmask_b32 v61, -1, v61, s[58:59]               // LDD clip if OOB. offset
/* (d1,vc1,d0,vc0)=(1,2,0,2) */
_v_add_co_u32 v4, vcc, v0, 2                       // coord0.1: coord0 += d0*sg0*VW + vc0
	;; [unrolled: 7-line block ×3, first 2 shown]
v_cmp_lt_u32 s[54:55], v4, s[sgprSizeI]            // coord0 < size0
v_cmp_lt_u32 s[58:59], v1, s[sgprSizeJ]            // coord1 < size1
s_and_b64 s[58:59], s[54:55], s[58:59]             // in0 && in1
_v_add_lshl_u32 v67, v3, v4, 0x1                   // scaleToBpe: accumulate d0 lower and *= bpe into Cin addr
v_cndmask_b32 v67, -1, v67, s[58:59]               // LDD clip if OOB. offset
/* (d1,vc1,d0,vc0)=(1,2,1,0) */
_v_add_co_u32 v4, vcc, v0, 64                      // coord0.1: coord0 += d0*sg0*VW + vc0
v_cmp_lt_u32 s[54:55], v4, s[sgprSizeI]            // coord0 < size0
v_cmp_lt_u32 s[58:59], v1, s[sgprSizeJ]            // coord1 < size1
s_and_b64 s[58:59], s[54:55], s[58:59]             // in0 && in1
_v_add_lshl_u32 v70, v3, v4, 0x1                   // scaleToBpe: accumulate d0 lower and *= bpe into Cin addr
v_cndmask_b32 v70, -1, v70, s[58:59]               // LDD clip if OOB. offset
/* (d1,vc1,d0,vc0)=(1,2,1,1) */
s_mov_b32 s54, 65                                  // coordOffset0 d0=1 vc0=1
_v_add_co_u32 v4, vcc, v0, s54                     // coord0.2: coord0 += d0*sg0*VW + vc0
v_cmp_lt_u32 s[54:55], v4, s[sgprSizeI]            // coord0 < size0
v_cmp_lt_u32 s[58:59], v1, s[sgprSizeJ]            // coord1 < size1
s_and_b64 s[58:59], s[54:55], s[58:59]             // in0 && in1
_v_add_lshl_u32 v73, v3, v4, 0x1                   // scaleToBpe: accumulate d0 lower and *= bpe into Cin addr
v_cndmask_b32 v73, -1, v73, s[58:59]               // LDD clip if OOB. offset
/* (d1,vc1,d0,vc0)=(1,2,1,2) */
s_mov_b32 s54, 66                                  // coordOffset0 d0=1 vc0=2
_v_add_co_u32 v4, vcc, v0, s54                     // coord0.2: coord0 += d0*sg0*VW + vc0
	;; [unrolled: 8-line block ×3, first 2 shown]
v_cmp_lt_u32 s[54:55], v4, s[sgprSizeI]            // coord0 < size0
v_cmp_lt_u32 s[58:59], v1, s[sgprSizeJ]            // coord1 < size1
s_and_b64 s[58:59], s[54:55], s[58:59]             // in0 && in1
_v_add_lshl_u32 v79, v3, v4, 0x1                   // scaleToBpe: accumulate d0 lower and *= bpe into Cin addr
v_cndmask_b32 v79, -1, v79, s[58:59]               // LDD clip if OOB. offset
/* (d1,vc1,d0,vc0)=(1,2,2,0) */
s_mov_b32 s54, 128                                 // coordOffset0 d0=2 vc0=0
_v_add_co_u32 v4, vcc, v0, s54                     // coord0.2: coord0 += d0*sg0*VW + vc0
v_cmp_lt_u32 s[54:55], v4, s[sgprSizeI]            // coord0 < size0
v_cmp_lt_u32 s[58:59], v1, s[sgprSizeJ]            // coord1 < size1
s_and_b64 s[58:59], s[54:55], s[58:59]             // in0 && in1
_v_add_lshl_u32 v82, v3, v4, 0x1                   // scaleToBpe: accumulate d0 lower and *= bpe into Cin addr
v_cndmask_b32 v82, -1, v82, s[58:59]               // LDD clip if OOB. offset
/* (d1,vc1,d0,vc0)=(1,2,2,1) */
s_mov_b32 s54, 129                                 // coordOffset0 d0=2 vc0=1
_v_add_co_u32 v4, vcc, v0, s54                     // coord0.2: coord0 += d0*sg0*VW + vc0
	;; [unrolled: 8-line block ×7, first 2 shown]
v_cmp_lt_u32 s[54:55], v4, s[sgprSizeI]            // coord0 < size0
v_cmp_lt_u32 s[58:59], v1, s[sgprSizeJ]            // coord1 < size1
s_and_b64 s[58:59], s[54:55], s[58:59]             // in0 && in1
_v_add_lshl_u32 v100, v3, v4, 0x1                  // scaleToBpe: accumulate d0 lower and *= bpe into Cin addr
v_cndmask_b32 v100, -1, v100, s[58:59]             // LDD clip if OOB. offset
/* (d1,vc1,d0,vc0)=(1,2,3,3) */
s_mov_b32 s54, 195                                 // coordOffset0 d0=3 vc0=3
_v_add_co_u32 v4, vcc, v0, s54                     // coord0.2: coord0 += d0*sg0*VW + vc0
v_cmp_lt_u32 s[54:55], v4, s[sgprSizeI]            // coord0 < size0
v_cmp_lt_u32 s[58:59], v1, s[sgprSizeJ]            // coord1 < size1
s_and_b64 s[58:59], s[54:55], s[58:59]             // in0 && in1
_v_add_lshl_u32 v103, v3, v4, 0x1                  // scaleToBpe: accumulate d0 lower and *= bpe into Cin addr
v_cndmask_b32 v103, -1, v103, s[58:59]             // LDD clip if OOB. offset
/* (d1,vc1,d0,vc0)=(1,3,0,0) */
_v_add_co_u32 v1, vcc, v1, 1                       // coord1.1: coord1Vgpr += d1*sg1*VW + vc1

/* Fix for UseInitialStridesCD, emitAddressSetupCode */
_v_add_u32 v2, v2, s[sgprStrideC1J]                // ROWINC- Move cinRowPtr to next row
_v_add_u32 v3, v3, s[sgprStrideD1J]                // Move coutRowPtr to next row
v_cmp_lt_u32 s[54:55], v0, s[sgprSizeI]            // coord0 < size0
v_cmp_lt_u32 s[58:59], v1, s[sgprSizeJ]            // coord1 < size1
s_and_b64 s[58:59], s[54:55], s[58:59]             // in0 && in1
_v_add_lshl_u32 v106, v3, v0, 0x1                  // scaleToBpe: accumulate d0 lower and *= bpe into Cin addr
v_cndmask_b32 v106, -1, v106, s[58:59]             // LDD clip if OOB. offset
/* (d1,vc1,d0,vc0)=(1,3,0,1) */
_v_add_co_u32 v4, vcc, v0, 1                       // coord0.1: coord0 += d0*sg0*VW + vc0
v_cmp_lt_u32 s[54:55], v4, s[sgprSizeI]            // coord0 < size0
v_cmp_lt_u32 s[58:59], v1, s[sgprSizeJ]            // coord1 < size1
s_and_b64 s[58:59], s[54:55], s[58:59]             // in0 && in1
_v_add_lshl_u32 v109, v3, v4, 0x1                  // scaleToBpe: accumulate d0 lower and *= bpe into Cin addr
v_cndmask_b32 v109, -1, v109, s[58:59]             // LDD clip if OOB. offset
/* (d1,vc1,d0,vc0)=(1,3,0,2) */
_v_add_co_u32 v4, vcc, v0, 2                       // coord0.1: coord0 += d0*sg0*VW + vc0
v_cmp_lt_u32 s[54:55], v4, s[sgprSizeI]            // coord0 < size0
v_cmp_lt_u32 s[58:59], v1, s[sgprSizeJ]            // coord1 < size1
s_and_b64 s[58:59], s[54:55], s[58:59]             // in0 && in1
_v_add_lshl_u32 v112, v3, v4, 0x1                  // scaleToBpe: accumulate d0 lower and *= bpe into Cin addr
v_cndmask_b32 v112, -1, v112, s[58:59]             // LDD clip if OOB. offset
/* (d1,vc1,d0,vc0)=(1,3,0,3) */
_v_add_co_u32 v4, vcc, v0, 3                       // coord0.1: coord0 += d0*sg0*VW + vc0
v_cmp_lt_u32 s[54:55], v4, s[sgprSizeI]            // coord0 < size0
v_cmp_lt_u32 s[58:59], v1, s[sgprSizeJ]            // coord1 < size1
s_and_b64 s[58:59], s[54:55], s[58:59]             // in0 && in1
_v_add_lshl_u32 v115, v3, v4, 0x1                  // scaleToBpe: accumulate d0 lower and *= bpe into Cin addr
v_cndmask_b32 v115, -1, v115, s[58:59]             // LDD clip if OOB. offset
/* (d1,vc1,d0,vc0)=(1,3,1,0) */
_v_add_co_u32 v4, vcc, v0, 64                      // coord0.1: coord0 += d0*sg0*VW + vc0
v_cmp_lt_u32 s[54:55], v4, s[sgprSizeI]            // coord0 < size0
v_cmp_lt_u32 s[58:59], v1, s[sgprSizeJ]            // coord1 < size1
s_and_b64 s[58:59], s[54:55], s[58:59]             // in0 && in1
_v_add_lshl_u32 v121, v3, v4, 0x1                  // scaleToBpe: accumulate d0 lower and *= bpe into Cin addr
v_cndmask_b32 v121, -1, v121, s[58:59]             // LDD clip if OOB. offset
/* (d1,vc1,d0,vc0)=(1,3,1,1) */
s_mov_b32 s54, 65                                  // coordOffset0 d0=1 vc0=1
_v_add_co_u32 v4, vcc, v0, s54                     // coord0.2: coord0 += d0*sg0*VW + vc0
v_cmp_lt_u32 s[54:55], v4, s[sgprSizeI]            // coord0 < size0
v_cmp_lt_u32 s[58:59], v1, s[sgprSizeJ]            // coord1 < size1
s_and_b64 s[58:59], s[54:55], s[58:59]             // in0 && in1
_v_add_lshl_u32 v124, v3, v4, 0x1                  // scaleToBpe: accumulate d0 lower and *= bpe into Cin addr
v_cndmask_b32 v124, -1, v124, s[58:59]             // LDD clip if OOB. offset
/* (d1,vc1,d0,vc0)=(1,3,1,2) */
s_mov_b32 s54, 66                                  // coordOffset0 d0=1 vc0=2
_v_add_co_u32 v4, vcc, v0, s54                     // coord0.2: coord0 += d0*sg0*VW + vc0
	;; [unrolled: 8-line block ×3, first 2 shown]
v_cmp_lt_u32 s[54:55], v4, s[sgprSizeI]            // coord0 < size0
v_cmp_lt_u32 s[58:59], v1, s[sgprSizeJ]            // coord1 < size1
s_and_b64 s[58:59], s[54:55], s[58:59]             // in0 && in1
_v_add_lshl_u32 v130, v3, v4, 0x1                  // scaleToBpe: accumulate d0 lower and *= bpe into Cin addr
v_cndmask_b32 v130, -1, v130, s[58:59]             // LDD clip if OOB. offset
/* (d1,vc1,d0,vc0)=(1,3,2,0) */
s_mov_b32 s54, 128                                 // coordOffset0 d0=2 vc0=0
_v_add_co_u32 v4, vcc, v0, s54                     // coord0.2: coord0 += d0*sg0*VW + vc0
v_cmp_lt_u32 s[54:55], v4, s[sgprSizeI]            // coord0 < size0
v_cmp_lt_u32 s[58:59], v1, s[sgprSizeJ]            // coord1 < size1
s_and_b64 s[58:59], s[54:55], s[58:59]             // in0 && in1
_v_add_lshl_u32 v133, v3, v4, 0x1                  // scaleToBpe: accumulate d0 lower and *= bpe into Cin addr
v_cndmask_b32 v133, -1, v133, s[58:59]             // LDD clip if OOB. offset
/* (d1,vc1,d0,vc0)=(1,3,2,1) */
s_mov_b32 s54, 129                                 // coordOffset0 d0=2 vc0=1
_v_add_co_u32 v4, vcc, v0, s54                     // coord0.2: coord0 += d0*sg0*VW + vc0
	;; [unrolled: 8-line block ×8, first 2 shown]
v_cmp_lt_u32 s[54:55], v4, s[sgprSizeI]            // coord0 < size0
v_cmp_lt_u32 s[58:59], v1, s[sgprSizeJ]            // coord1 < size1
s_and_b64 s[58:59], s[54:55], s[58:59]             // in0 && in1
_v_add_lshl_u32 v154, v3, v4, 0x1                  // scaleToBpe: accumulate d0 lower and *= bpe into Cin addr
v_cndmask_b32 v154, -1, v154, s[58:59]             // LDD clip if OOB. offset
/* (d1,vc1,d0,vc0)=(2,0,0,0) */
_v_add_co_u32 v1, vcc, v1, 61                      // coord1.1: coord1Vgpr += d1*sg1*VW + vc1

/* Fix for UseInitialStridesCD, emitAddressSetupCode */
s_mul_i32 s54, s[sgprStrideC1J], 61                // scale stride
_v_add_u32 v2, v2, s54                             // ROWINC- Move cinRowPtr to next row
s_mul_i32 s54, s[sgprStrideD1J], 61                // scale stride
_v_add_u32 v3, v3, s54                             // Move coutRowPtr to next row
v_cmp_lt_u32 s[54:55], v0, s[sgprSizeI]            // coord0 < size0
v_cmp_lt_u32 s[58:59], v1, s[sgprSizeJ]            // coord1 < size1
s_and_b64 s[58:59], s[54:55], s[58:59]             // in0 && in1
_v_add_lshl_u32 v157, v3, v0, 0x1                  // scaleToBpe: accumulate d0 lower and *= bpe into Cin addr
v_cndmask_b32 v157, -1, v157, s[58:59]             // LDD clip if OOB. offset
/* (d1,vc1,d0,vc0)=(2,0,0,1) */
_v_add_co_u32 v4, vcc, v0, 1                       // coord0.1: coord0 += d0*sg0*VW + vc0
v_cmp_lt_u32 s[54:55], v4, s[sgprSizeI]            // coord0 < size0
v_cmp_lt_u32 s[58:59], v1, s[sgprSizeJ]            // coord1 < size1
s_and_b64 s[58:59], s[54:55], s[58:59]             // in0 && in1
_v_add_lshl_u32 v160, v3, v4, 0x1                  // scaleToBpe: accumulate d0 lower and *= bpe into Cin addr
v_cndmask_b32 v160, -1, v160, s[58:59]             // LDD clip if OOB. offset
/* (d1,vc1,d0,vc0)=(2,0,0,2) */
_v_add_co_u32 v4, vcc, v0, 2                       // coord0.1: coord0 += d0*sg0*VW + vc0
	;; [unrolled: 7-line block ×3, first 2 shown]
v_cmp_lt_u32 s[54:55], v4, s[sgprSizeI]            // coord0 < size0
v_cmp_lt_u32 s[58:59], v1, s[sgprSizeJ]            // coord1 < size1
s_and_b64 s[58:59], s[54:55], s[58:59]             // in0 && in1
_v_add_lshl_u32 v166, v3, v4, 0x1                  // scaleToBpe: accumulate d0 lower and *= bpe into Cin addr
v_cndmask_b32 v166, -1, v166, s[58:59]             // LDD clip if OOB. offset
/* (d1,vc1,d0,vc0)=(2,0,1,0) */
_v_add_co_u32 v4, vcc, v0, 64                      // coord0.1: coord0 += d0*sg0*VW + vc0
v_cmp_lt_u32 s[54:55], v4, s[sgprSizeI]            // coord0 < size0
v_cmp_lt_u32 s[58:59], v1, s[sgprSizeJ]            // coord1 < size1
s_and_b64 s[58:59], s[54:55], s[58:59]             // in0 && in1
_v_add_lshl_u32 v169, v3, v4, 0x1                  // scaleToBpe: accumulate d0 lower and *= bpe into Cin addr
v_cndmask_b32 v169, -1, v169, s[58:59]             // LDD clip if OOB. offset
/* (d1,vc1,d0,vc0)=(2,0,1,1) */
s_mov_b32 s54, 65                                  // coordOffset0 d0=1 vc0=1
_v_add_co_u32 v4, vcc, v0, s54                     // coord0.2: coord0 += d0*sg0*VW + vc0
v_cmp_lt_u32 s[54:55], v4, s[sgprSizeI]            // coord0 < size0
v_cmp_lt_u32 s[58:59], v1, s[sgprSizeJ]            // coord1 < size1
s_and_b64 s[58:59], s[54:55], s[58:59]             // in0 && in1
_v_add_lshl_u32 v172, v3, v4, 0x1                  // scaleToBpe: accumulate d0 lower and *= bpe into Cin addr
v_cndmask_b32 v172, -1, v172, s[58:59]             // LDD clip if OOB. offset
/* (d1,vc1,d0,vc0)=(2,0,1,2) */
s_mov_b32 s54, 66                                  // coordOffset0 d0=1 vc0=2
_v_add_co_u32 v4, vcc, v0, s54                     // coord0.2: coord0 += d0*sg0*VW + vc0
	;; [unrolled: 8-line block ×3, first 2 shown]
v_cmp_lt_u32 s[54:55], v4, s[sgprSizeI]            // coord0 < size0
v_cmp_lt_u32 s[58:59], v1, s[sgprSizeJ]            // coord1 < size1
s_and_b64 s[58:59], s[54:55], s[58:59]             // in0 && in1
_v_add_lshl_u32 v178, v3, v4, 0x1                  // scaleToBpe: accumulate d0 lower and *= bpe into Cin addr
v_cndmask_b32 v178, -1, v178, s[58:59]             // LDD clip if OOB. offset
/* (d1,vc1,d0,vc0)=(2,0,2,0) */
s_mov_b32 s54, 128                                 // coordOffset0 d0=2 vc0=0
_v_add_co_u32 v4, vcc, v0, s54                     // coord0.2: coord0 += d0*sg0*VW + vc0
v_cmp_lt_u32 s[54:55], v4, s[sgprSizeI]            // coord0 < size0
v_cmp_lt_u32 s[58:59], v1, s[sgprSizeJ]            // coord1 < size1
s_and_b64 s[58:59], s[54:55], s[58:59]             // in0 && in1
_v_add_lshl_u32 v181, v3, v4, 0x1                  // scaleToBpe: accumulate d0 lower and *= bpe into Cin addr
v_cndmask_b32 v181, -1, v181, s[58:59]             // LDD clip if OOB. offset
/* (d1,vc1,d0,vc0)=(2,0,2,1) */
s_mov_b32 s54, 129                                 // coordOffset0 d0=2 vc0=1
_v_add_co_u32 v4, vcc, v0, s54                     // coord0.2: coord0 += d0*sg0*VW + vc0
	;; [unrolled: 8-line block ×8, first 2 shown]
v_cmp_lt_u32 s[54:55], v4, s[sgprSizeI]            // coord0 < size0
v_cmp_lt_u32 s[58:59], v1, s[sgprSizeJ]            // coord1 < size1
s_and_b64 s[58:59], s[54:55], s[58:59]             // in0 && in1
_v_add_lshl_u32 v202, v3, v4, 0x1                  // scaleToBpe: accumulate d0 lower and *= bpe into Cin addr
v_cndmask_b32 v202, -1, v202, s[58:59]             // LDD clip if OOB. offset
/* (d1,vc1,d0,vc0)=(2,1,0,0) */
_v_add_co_u32 v1, vcc, v1, 1                       // coord1.1: coord1Vgpr += d1*sg1*VW + vc1

/* Fix for UseInitialStridesCD, emitAddressSetupCode */
_v_add_u32 v2, v2, s[sgprStrideC1J]                // ROWINC- Move cinRowPtr to next row
_v_add_u32 v3, v3, s[sgprStrideD1J]                // Move coutRowPtr to next row
v_cmp_lt_u32 s[54:55], v0, s[sgprSizeI]            // coord0 < size0
v_cmp_lt_u32 s[58:59], v1, s[sgprSizeJ]            // coord1 < size1
s_and_b64 s[58:59], s[54:55], s[58:59]             // in0 && in1
_v_add_lshl_u32 v205, v3, v0, 0x1                  // scaleToBpe: accumulate d0 lower and *= bpe into Cin addr
v_cndmask_b32 v205, -1, v205, s[58:59]             // LDD clip if OOB. offset
/* (d1,vc1,d0,vc0)=(2,1,0,1) */
_v_add_co_u32 v4, vcc, v0, 1                       // coord0.1: coord0 += d0*sg0*VW + vc0
v_cmp_lt_u32 s[54:55], v4, s[sgprSizeI]            // coord0 < size0
v_cmp_lt_u32 s[58:59], v1, s[sgprSizeJ]            // coord1 < size1
s_and_b64 s[58:59], s[54:55], s[58:59]             // in0 && in1
_v_add_lshl_u32 v208, v3, v4, 0x1                  // scaleToBpe: accumulate d0 lower and *= bpe into Cin addr
v_cndmask_b32 v208, -1, v208, s[58:59]             // LDD clip if OOB. offset
/* (d1,vc1,d0,vc0)=(2,1,0,2) */
_v_add_co_u32 v4, vcc, v0, 2                       // coord0.1: coord0 += d0*sg0*VW + vc0
	;; [unrolled: 7-line block ×3, first 2 shown]
v_cmp_lt_u32 s[54:55], v4, s[sgprSizeI]            // coord0 < size0
v_cmp_lt_u32 s[58:59], v1, s[sgprSizeJ]            // coord1 < size1
s_and_b64 s[58:59], s[54:55], s[58:59]             // in0 && in1
_v_add_lshl_u32 v214, v3, v4, 0x1                  // scaleToBpe: accumulate d0 lower and *= bpe into Cin addr
v_cndmask_b32 v214, -1, v214, s[58:59]             // LDD clip if OOB. offset
/* (d1,vc1,d0,vc0)=(2,1,1,0) */
_v_add_co_u32 v4, vcc, v0, 64                      // coord0.1: coord0 += d0*sg0*VW + vc0
v_cmp_lt_u32 s[54:55], v4, s[sgprSizeI]            // coord0 < size0
v_cmp_lt_u32 s[58:59], v1, s[sgprSizeJ]            // coord1 < size1
s_and_b64 s[58:59], s[54:55], s[58:59]             // in0 && in1
_v_add_lshl_u32 v217, v3, v4, 0x1                  // scaleToBpe: accumulate d0 lower and *= bpe into Cin addr
v_cndmask_b32 v217, -1, v217, s[58:59]             // LDD clip if OOB. offset
/* (d1,vc1,d0,vc0)=(2,1,1,1) */
s_mov_b32 s54, 65                                  // coordOffset0 d0=1 vc0=1
_v_add_co_u32 v4, vcc, v0, s54                     // coord0.2: coord0 += d0*sg0*VW + vc0
v_cmp_lt_u32 s[54:55], v4, s[sgprSizeI]            // coord0 < size0
v_cmp_lt_u32 s[58:59], v1, s[sgprSizeJ]            // coord1 < size1
s_and_b64 s[58:59], s[54:55], s[58:59]             // in0 && in1
_v_add_lshl_u32 v220, v3, v4, 0x1                  // scaleToBpe: accumulate d0 lower and *= bpe into Cin addr
v_cndmask_b32 v220, -1, v220, s[58:59]             // LDD clip if OOB. offset
/* (d1,vc1,d0,vc0)=(2,1,1,2) */
s_mov_b32 s54, 66                                  // coordOffset0 d0=1 vc0=2
_v_add_co_u32 v4, vcc, v0, s54                     // coord0.2: coord0 += d0*sg0*VW + vc0
	;; [unrolled: 8-line block ×3, first 2 shown]
v_cmp_lt_u32 s[54:55], v4, s[sgprSizeI]            // coord0 < size0
v_cmp_lt_u32 s[58:59], v1, s[sgprSizeJ]            // coord1 < size1
s_and_b64 s[58:59], s[54:55], s[58:59]             // in0 && in1
_v_add_lshl_u32 v226, v3, v4, 0x1                  // scaleToBpe: accumulate d0 lower and *= bpe into Cin addr
v_cndmask_b32 v226, -1, v226, s[58:59]             // LDD clip if OOB. offset
/* (d1,vc1,d0,vc0)=(2,1,2,0) */
s_mov_b32 s54, 128                                 // coordOffset0 d0=2 vc0=0
_v_add_co_u32 v4, vcc, v0, s54                     // coord0.2: coord0 += d0*sg0*VW + vc0
v_cmp_lt_u32 s[54:55], v4, s[sgprSizeI]            // coord0 < size0
v_cmp_lt_u32 s[58:59], v1, s[sgprSizeJ]            // coord1 < size1
s_and_b64 s[58:59], s[54:55], s[58:59]             // in0 && in1
_v_add_lshl_u32 v229, v3, v4, 0x1                  // scaleToBpe: accumulate d0 lower and *= bpe into Cin addr
v_cndmask_b32 v229, -1, v229, s[58:59]             // LDD clip if OOB. offset
/* (d1,vc1,d0,vc0)=(2,1,2,1) */
s_mov_b32 s54, 129                                 // coordOffset0 d0=2 vc0=1
_v_add_co_u32 v4, vcc, v0, s54                     // coord0.2: coord0 += d0*sg0*VW + vc0
v_cmp_lt_u32 s[54:55], v4, s[sgprSizeI]            // coord0 < size0
v_cmp_lt_u32 s[58:59], v1, s[sgprSizeJ]            // coord1 < size1
s_and_b64 s[58:59], s[54:55], s[58:59]             // in0 && in1
_v_add_lshl_u32 v232, v3, v4, 0x1                  // scaleToBpe: accumulate d0 lower and *= bpe into Cin addr
v_cndmask_b32 v232, -1, v232, s[58:59]             // LDD clip if OOB. offset
/* (d1,vc1,d0,vc0)=(2,1,2,2) */
s_mov_b32 s54, 130                                 // coordOffset0 d0=2 vc0=2
_v_add_co_u32 v4, vcc, v0, s54                     // coord0.2: coord0 += d0*sg0*VW + vc0
v_cmp_lt_u32 s[54:55], v4, s[sgprSizeI]            // coord0 < size0
v_cmp_lt_u32 s[58:59], v1, s[sgprSizeJ]            // coord1 < size1
s_and_b64 s[58:59], s[54:55], s[58:59]             // in0 && in1
_v_add_lshl_u32 v235, v3, v4, 0x1                  // scaleToBpe: accumulate d0 lower and *= bpe into Cin addr
v_cndmask_b32 v235, -1, v235, s[58:59]             // LDD clip if OOB. offset
/* (d1,vc1,d0,vc0)=(2,1,2,3) */
s_mov_b32 s54, 131                                 // coordOffset0 d0=2 vc0=3
_v_add_co_u32 v4, vcc, v0, s54                     // coord0.2: coord0 += d0*sg0*VW + vc0
v_cmp_lt_u32 s[54:55], v4, s[sgprSizeI]            // coord0 < size0
v_cmp_lt_u32 s[58:59], v1, s[sgprSizeJ]            // coord1 < size1
s_and_b64 s[58:59], s[54:55], s[58:59]             // in0 && in1
_v_add_lshl_u32 v238, v3, v4, 0x1                  // scaleToBpe: accumulate d0 lower and *= bpe into Cin addr
v_cndmask_b32 v238, -1, v238, s[58:59]             // LDD clip if OOB. offset
/* (d1,vc1,d0,vc0)=(2,1,3,0) */
s_mov_b32 s54, 192                                 // coordOffset0 d0=3 vc0=0
_v_add_co_u32 v4, vcc, v0, s54                     // coord0.2: coord0 += d0*sg0*VW + vc0
v_cmp_lt_u32 s[54:55], v4, s[sgprSizeI]            // coord0 < size0
v_cmp_lt_u32 s[58:59], v1, s[sgprSizeJ]            // coord1 < size1
s_and_b64 s[58:59], s[54:55], s[58:59]             // in0 && in1
_v_add_lshl_u32 v241, v3, v4, 0x1                  // scaleToBpe: accumulate d0 lower and *= bpe into Cin addr
v_cndmask_b32 v241, -1, v241, s[58:59]             // LDD clip if OOB. offset
/* (d1,vc1,d0,vc0)=(2,1,3,1) */
s_mov_b32 s54, 193                                 // coordOffset0 d0=3 vc0=1
_v_add_co_u32 v4, vcc, v0, s54                     // coord0.2: coord0 += d0*sg0*VW + vc0
v_cmp_lt_u32 s[54:55], v4, s[sgprSizeI]            // coord0 < size0
v_cmp_lt_u32 s[58:59], v1, s[sgprSizeJ]            // coord1 < size1
s_and_b64 s[58:59], s[54:55], s[58:59]             // in0 && in1
_v_add_lshl_u32 v244, v3, v4, 0x1                  // scaleToBpe: accumulate d0 lower and *= bpe into Cin addr
v_cndmask_b32 v244, -1, v244, s[58:59]             // LDD clip if OOB. offset
/* (d1,vc1,d0,vc0)=(2,1,3,2) */
s_mov_b32 s54, 194                                 // coordOffset0 d0=3 vc0=2
_v_add_co_u32 v4, vcc, v0, s54                     // coord0.2: coord0 += d0*sg0*VW + vc0
v_cmp_lt_u32 s[54:55], v4, s[sgprSizeI]            // coord0 < size0
v_cmp_lt_u32 s[58:59], v1, s[sgprSizeJ]            // coord1 < size1
s_and_b64 s[58:59], s[54:55], s[58:59]             // in0 && in1
_v_add_lshl_u32 v247, v3, v4, 0x1                  // scaleToBpe: accumulate d0 lower and *= bpe into Cin addr
v_cndmask_b32 v247, -1, v247, s[58:59]             // LDD clip if OOB. offset
/* (d1,vc1,d0,vc0)=(2,1,3,3) */
s_mov_b32 s54, 195                                 // coordOffset0 d0=3 vc0=3
_v_add_co_u32 v4, vcc, v0, s54                     // coord0.2: coord0 += d0*sg0*VW + vc0
v_cmp_lt_u32 s[54:55], v4, s[sgprSizeI]            // coord0 < size0
v_cmp_lt_u32 s[58:59], v1, s[sgprSizeJ]            // coord1 < size1
s_and_b64 s[58:59], s[54:55], s[58:59]             // in0 && in1
_v_add_lshl_u32 v250, v3, v4, 0x1                  // scaleToBpe: accumulate d0 lower and *= bpe into Cin addr
v_cndmask_b32 v250, -1, v250, s[58:59]             // LDD clip if OOB. offset
v_accvgpr_read_b32 v[vgprValuC+12], acc65 // copy acc to vreg[80]
v_accvgpr_read_b32 v[vgprValuC+15], acc69 // copy acc to vreg[81]
v_accvgpr_read_b32 v[vgprValuC+18], acc73 // copy acc to vreg[82]
v_accvgpr_read_b32 v[vgprValuC+21], acc77 // copy acc to vreg[83]
v_accvgpr_read_b32 v[vgprValuC+24], acc81 // copy acc to vreg[84]
v_accvgpr_read_b32 v[vgprValuC+27], acc85 // copy acc to vreg[85]
v_accvgpr_read_b32 v[vgprValuC+30], acc89 // copy acc to vreg[86]
v_accvgpr_read_b32 v[vgprValuC+33], acc93 // copy acc to vreg[87]
v_accvgpr_read_b32 v[vgprValuC+36], acc97 // copy acc to vreg[88]
v_accvgpr_read_b32 v[vgprValuC+39], acc101 // copy acc to vreg[89]
v_accvgpr_read_b32 v[vgprValuC+42], acc105 // copy acc to vreg[90]
v_accvgpr_read_b32 v[vgprValuC+45], acc109 // copy acc to vreg[91]
v_accvgpr_read_b32 v[vgprValuC+48], acc113 // copy acc to vreg[92]
v_accvgpr_read_b32 v[vgprValuC+51], acc117 // copy acc to vreg[93]
v_accvgpr_read_b32 v[vgprValuC+54], acc121 // copy acc to vreg[94]
v_accvgpr_read_b32 v[vgprValuC+57], acc125 // copy acc to vreg[95]
v_accvgpr_read_b32 v[vgprValuC+60], acc66 // copy acc to vreg[96]
v_accvgpr_read_b32 v[vgprValuC+63], acc70 // copy acc to vreg[97]
v_accvgpr_read_b32 v[vgprValuC+66], acc74 // copy acc to vreg[98]
v_accvgpr_read_b32 v[vgprValuC+69], acc78 // copy acc to vreg[99]
v_accvgpr_read_b32 v[vgprValuC+72], acc82 // copy acc to vreg[100]
v_accvgpr_read_b32 v[vgprValuC+75], acc86 // copy acc to vreg[101]
v_accvgpr_read_b32 v[vgprValuC+78], acc90 // copy acc to vreg[102]
v_accvgpr_read_b32 v[vgprValuC+81], acc94 // copy acc to vreg[103]
v_accvgpr_read_b32 v[vgprValuC+84], acc98 // copy acc to vreg[104]
v_accvgpr_read_b32 v[vgprValuC+87], acc102 // copy acc to vreg[105]
v_accvgpr_read_b32 v[vgprValuC+90], acc106 // copy acc to vreg[106]
v_accvgpr_read_b32 v[vgprValuC+93], acc110 // copy acc to vreg[107]
v_accvgpr_read_b32 v[vgprValuC+96], acc114 // copy acc to vreg[108]
v_accvgpr_read_b32 v[vgprValuC+99], acc118 // copy acc to vreg[109]
v_accvgpr_read_b32 v[vgprValuC+102], acc122 // copy acc to vreg[110]
v_accvgpr_read_b32 v[vgprValuC+105], acc126 // copy acc to vreg[111]
v_accvgpr_read_b32 v[vgprValuC+108], acc67 // copy acc to vreg[112]
v_accvgpr_read_b32 v[vgprValuC+111], acc71 // copy acc to vreg[113]
v_accvgpr_read_b32 v[vgprValuC+114], acc75 // copy acc to vreg[114]
v_accvgpr_read_b32 v[vgprValuC+120], acc79 // copy acc to vreg[115]
v_accvgpr_read_b32 v[vgprValuC+123], acc83 // copy acc to vreg[116]
v_accvgpr_read_b32 v[vgprValuC+126], acc87 // copy acc to vreg[117]
v_accvgpr_read_b32 v[vgprValuC+129], acc91 // copy acc to vreg[118]
v_accvgpr_read_b32 v[vgprValuC+132], acc95 // copy acc to vreg[119]
v_accvgpr_read_b32 v[vgprValuC+135], acc99 // copy acc to vreg[120]
v_accvgpr_read_b32 v[vgprValuC+138], acc103 // copy acc to vreg[121]
v_accvgpr_read_b32 v[vgprValuC+141], acc107 // copy acc to vreg[122]
v_accvgpr_read_b32 v[vgprValuC+144], acc111 // copy acc to vreg[123]
v_accvgpr_read_b32 v[vgprValuC+147], acc115 // copy acc to vreg[124]
v_accvgpr_read_b32 v[vgprValuC+150], acc119 // copy acc to vreg[125]
v_accvgpr_read_b32 v[vgprValuC+153], acc123 // copy acc to vreg[126]
v_accvgpr_read_b32 v[vgprValuC+156], acc127 // copy acc to vreg[127]
v_accvgpr_read_b32 v[vgprValuC+159], acc128 // copy acc to vreg[128]
v_accvgpr_read_b32 v[vgprValuC+162], acc132 // copy acc to vreg[129]
v_accvgpr_read_b32 v[vgprValuC+165], acc136 // copy acc to vreg[130]
v_accvgpr_read_b32 v[vgprValuC+168], acc140 // copy acc to vreg[131]
v_accvgpr_read_b32 v[vgprValuC+171], acc144 // copy acc to vreg[132]
v_accvgpr_read_b32 v[vgprValuC+174], acc148 // copy acc to vreg[133]
v_accvgpr_read_b32 v[vgprValuC+177], acc152 // copy acc to vreg[134]
v_accvgpr_read_b32 v[vgprValuC+180], acc156 // copy acc to vreg[135]
v_accvgpr_read_b32 v[vgprValuC+183], acc160 // copy acc to vreg[136]
v_accvgpr_read_b32 v[vgprValuC+186], acc164 // copy acc to vreg[137]
v_accvgpr_read_b32 v[vgprValuC+189], acc168 // copy acc to vreg[138]
v_accvgpr_read_b32 v[vgprValuC+192], acc172 // copy acc to vreg[139]
v_accvgpr_read_b32 v[vgprValuC+195], acc176 // copy acc to vreg[140]
v_accvgpr_read_b32 v[vgprValuC+198], acc180 // copy acc to vreg[141]
v_accvgpr_read_b32 v[vgprValuC+201], acc184 // copy acc to vreg[142]
v_accvgpr_read_b32 v[vgprValuC+204], acc188 // copy acc to vreg[143]
v_accvgpr_read_b32 v[vgprValuC+207], acc129 // copy acc to vreg[144]
v_accvgpr_read_b32 v[vgprValuC+210], acc133 // copy acc to vreg[145]
v_accvgpr_read_b32 v[vgprValuC+213], acc137 // copy acc to vreg[146]
v_accvgpr_read_b32 v[vgprValuC+216], acc141 // copy acc to vreg[147]
v_accvgpr_read_b32 v[vgprValuC+219], acc145 // copy acc to vreg[148]
v_accvgpr_read_b32 v[vgprValuC+222], acc149 // copy acc to vreg[149]
v_accvgpr_read_b32 v[vgprValuC+225], acc153 // copy acc to vreg[150]
v_accvgpr_read_b32 v[vgprValuC+228], acc157 // copy acc to vreg[151]
v_accvgpr_read_b32 v[vgprValuC+231], acc161 // copy acc to vreg[152]
v_accvgpr_read_b32 v[vgprValuC+234], acc165 // copy acc to vreg[153]
v_accvgpr_read_b32 v[vgprValuC+237], acc169 // copy acc to vreg[154]
v_accvgpr_read_b32 v[vgprValuC+240], acc173 // copy acc to vreg[155]
v_accvgpr_read_b32 v[vgprValuC+243], acc177 // copy acc to vreg[156]
v_accvgpr_read_b32 v[vgprValuC+246], acc181 // copy acc to vreg[157]
v_accvgpr_read_b32 v[vgprValuC+249], acc185 // copy acc to vreg[158]
v_accvgpr_read_b32 v[vgprValuC+252], acc189 // copy acc to vreg[159]
s_nop 1                                            // 2 wait states required before reading vgpr

/* rC *= alpha batchElements=[(1, 0, 1, 0), (1, 0, 1, 1), (1, 0, 1, 2), (1, 0, 1, 3), (1, 1, 1, 0), (1, 1, 1, 1), (1, 1, 1, 2), (1, 1, 1, 3), (1, 2, 1, 0), (1, 2, 1, 1), (1, 2, 1, 2), (1, 2, 1, 3), (1, 3, 1, 0), (1, 3, 1, 1), (1, 3, 1, 2), (1, 3, 1, 3), (1, 0, 2, 0), (1, 0, 2, 1), (1, 0, 2, 2), (1, 0, 2, 3), (1, 1, 2, 0), (1, 1, 2, 1), (1, 1, 2, 2), (1, 1, 2, 3), (1, 2, 2, 0), (1, 2, 2, 1), (1, 2, 2, 2), (1, 2, 2, 3), (1, 3, 2, 0), (1, 3, 2, 1), (1, 3, 2, 2), (1, 3, 2, 3), (1, 0, 3, 0), (1, 0, 3, 1), (1, 0, 3, 2), (1, 0, 3, 3), (1, 1, 3, 0), (1, 1, 3, 1), (1, 1, 3, 2), (1, 1, 3, 3), (1, 2, 3, 0), (1, 2, 3, 1), (1, 2, 3, 2), (1, 2, 3, 3), (1, 3, 3, 0), (1, 3, 3, 1), (1, 3, 3, 2), (1, 3, 3, 3), (2, 0, 0, 0), (2, 0, 0, 1), (2, 0, 0, 2), (2, 0, 0, 3), (2, 1, 0, 0), (2, 1, 0, 1), (2, 1, 0, 2), (2, 1, 0, 3), (2, 2, 0, 0), (2, 2, 0, 1), (2, 2, 0, 2), (2, 2, 0, 3), (2, 3, 0, 0), (2, 3, 0, 1), (2, 3, 0, 2), (2, 3, 0, 3), (2, 0, 1, 0), (2, 0, 1, 1), (2, 0, 1, 2), (2, 0, 1, 3), (2, 1, 1, 0), (2, 1, 1, 1), (2, 1, 1, 2), (2, 1, 1, 3), (2, 2, 1, 0), (2, 2, 1, 1), (2, 2, 1, 2), (2, 2, 1, 3), (2, 3, 1, 0), (2, 3, 1, 1), (2, 3, 1, 2), (2, 3, 1, 3)] */
v_mul_f32 v[vgprValuC+12], s[sgprAlpha], v[vgprValuC+12] // *= alpha
v_mul_f32 v[vgprValuC+15], s[sgprAlpha], v[vgprValuC+15] // *= alpha
	;; [unrolled: 1-line block ×80, first 2 shown]

/* apply mask, calc new C and issue writes */
v_mov_b32 v7, 0xffff0000                           // mask for pack two bfloat16 element to 32bit
v_mov_b32 v8, 0x7fff0000                           // fp32 Nan
v_mov_b32 v9, 0x7fff                               // rounding bias for bfloat16
v_cmp_u_f32 s[54:55], v[vgprValuC+12], v[vgprValuC+12] // check Nan
v_bfe_u32 v6, v[vgprValuC+12], 16, 1               // Non-Nan case: store lsb of bf16
v_add3_u32 v6, v[vgprValuC+12], v6, v9             // Non-Nan case: add lsb and the increment for rounding
v_cndmask_b32 v[vgprValuC+12], v6, v8, s[54:55]    // 
v_lshrrev_b32 v[vgprValuC+12], 16, v[vgprValuC+12] // convert C to bf16
v_cmp_u_f32 s[54:55], v[vgprValuC+15], v[vgprValuC+15] // check Nan
v_bfe_u32 v6, v[vgprValuC+15], 16, 1               // Non-Nan case: store lsb of bf16
v_add3_u32 v6, v[vgprValuC+15], v6, v9             // Non-Nan case: add lsb and the increment for rounding
v_cndmask_b32 v[vgprValuC+15], v6, v8, s[54:55]    // 
v_lshrrev_b32 v[vgprValuC+15], 16, v[vgprValuC+15] // convert C to bf16
v_cmp_u_f32 s[54:55], v[vgprValuC+18], v[vgprValuC+18] // check Nan
v_bfe_u32 v6, v[vgprValuC+18], 16, 1               // Non-Nan case: store lsb of bf16
v_add3_u32 v6, v[vgprValuC+18], v6, v9             // Non-Nan case: add lsb and the increment for rounding
v_cndmask_b32 v[vgprValuC+18], v6, v8, s[54:55]    // 
v_lshrrev_b32 v[vgprValuC+18], 16, v[vgprValuC+18] // convert C to bf16
v_cmp_u_f32 s[54:55], v[vgprValuC+21], v[vgprValuC+21] // check Nan
v_bfe_u32 v6, v[vgprValuC+21], 16, 1               // Non-Nan case: store lsb of bf16
v_add3_u32 v6, v[vgprValuC+21], v6, v9             // Non-Nan case: add lsb and the increment for rounding
v_cndmask_b32 v[vgprValuC+21], v6, v8, s[54:55]    // 
v_lshrrev_b32 v[vgprValuC+21], 16, v[vgprValuC+21] // convert C to bf16
v_cmp_u_f32 s[54:55], v[vgprValuC+24], v[vgprValuC+24] // check Nan
v_bfe_u32 v6, v[vgprValuC+24], 16, 1               // Non-Nan case: store lsb of bf16
v_add3_u32 v6, v[vgprValuC+24], v6, v9             // Non-Nan case: add lsb and the increment for rounding
v_cndmask_b32 v[vgprValuC+24], v6, v8, s[54:55]    // 
v_lshrrev_b32 v[vgprValuC+24], 16, v[vgprValuC+24] // convert C to bf16
v_cmp_u_f32 s[54:55], v[vgprValuC+27], v[vgprValuC+27] // check Nan
v_bfe_u32 v6, v[vgprValuC+27], 16, 1               // Non-Nan case: store lsb of bf16
v_add3_u32 v6, v[vgprValuC+27], v6, v9             // Non-Nan case: add lsb and the increment for rounding
v_cndmask_b32 v[vgprValuC+27], v6, v8, s[54:55]    // 
v_lshrrev_b32 v[vgprValuC+27], 16, v[vgprValuC+27] // convert C to bf16
v_cmp_u_f32 s[54:55], v[vgprValuC+30], v[vgprValuC+30] // check Nan
v_bfe_u32 v6, v[vgprValuC+30], 16, 1               // Non-Nan case: store lsb of bf16
v_add3_u32 v6, v[vgprValuC+30], v6, v9             // Non-Nan case: add lsb and the increment for rounding
v_cndmask_b32 v[vgprValuC+30], v6, v8, s[54:55]    // 
v_lshrrev_b32 v[vgprValuC+30], 16, v[vgprValuC+30] // convert C to bf16
v_cmp_u_f32 s[54:55], v[vgprValuC+33], v[vgprValuC+33] // check Nan
v_bfe_u32 v6, v[vgprValuC+33], 16, 1               // Non-Nan case: store lsb of bf16
v_add3_u32 v6, v[vgprValuC+33], v6, v9             // Non-Nan case: add lsb and the increment for rounding
v_cndmask_b32 v[vgprValuC+33], v6, v8, s[54:55]    // 
v_lshrrev_b32 v[vgprValuC+33], 16, v[vgprValuC+33] // convert C to bf16
v_cmp_u_f32 s[54:55], v[vgprValuC+36], v[vgprValuC+36] // check Nan
v_bfe_u32 v6, v[vgprValuC+36], 16, 1               // Non-Nan case: store lsb of bf16
v_add3_u32 v6, v[vgprValuC+36], v6, v9             // Non-Nan case: add lsb and the increment for rounding
v_cndmask_b32 v[vgprValuC+36], v6, v8, s[54:55]    // 
v_lshrrev_b32 v[vgprValuC+36], 16, v[vgprValuC+36] // convert C to bf16
v_cmp_u_f32 s[54:55], v[vgprValuC+39], v[vgprValuC+39] // check Nan
v_bfe_u32 v6, v[vgprValuC+39], 16, 1               // Non-Nan case: store lsb of bf16
v_add3_u32 v6, v[vgprValuC+39], v6, v9             // Non-Nan case: add lsb and the increment for rounding
v_cndmask_b32 v[vgprValuC+39], v6, v8, s[54:55]    // 
v_lshrrev_b32 v[vgprValuC+39], 16, v[vgprValuC+39] // convert C to bf16
v_cmp_u_f32 s[54:55], v[vgprValuC+42], v[vgprValuC+42] // check Nan
v_bfe_u32 v6, v[vgprValuC+42], 16, 1               // Non-Nan case: store lsb of bf16
v_add3_u32 v6, v[vgprValuC+42], v6, v9             // Non-Nan case: add lsb and the increment for rounding
v_cndmask_b32 v[vgprValuC+42], v6, v8, s[54:55]    // 
v_lshrrev_b32 v[vgprValuC+42], 16, v[vgprValuC+42] // convert C to bf16
v_cmp_u_f32 s[54:55], v[vgprValuC+45], v[vgprValuC+45] // check Nan
v_bfe_u32 v6, v[vgprValuC+45], 16, 1               // Non-Nan case: store lsb of bf16
v_add3_u32 v6, v[vgprValuC+45], v6, v9             // Non-Nan case: add lsb and the increment for rounding
v_cndmask_b32 v[vgprValuC+45], v6, v8, s[54:55]    // 
v_lshrrev_b32 v[vgprValuC+45], 16, v[vgprValuC+45] // convert C to bf16
v_cmp_u_f32 s[54:55], v[vgprValuC+48], v[vgprValuC+48] // check Nan
v_bfe_u32 v6, v[vgprValuC+48], 16, 1               // Non-Nan case: store lsb of bf16
v_add3_u32 v6, v[vgprValuC+48], v6, v9             // Non-Nan case: add lsb and the increment for rounding
v_cndmask_b32 v[vgprValuC+48], v6, v8, s[54:55]    // 
v_lshrrev_b32 v[vgprValuC+48], 16, v[vgprValuC+48] // convert C to bf16
v_cmp_u_f32 s[54:55], v[vgprValuC+51], v[vgprValuC+51] // check Nan
v_bfe_u32 v6, v[vgprValuC+51], 16, 1               // Non-Nan case: store lsb of bf16
v_add3_u32 v6, v[vgprValuC+51], v6, v9             // Non-Nan case: add lsb and the increment for rounding
v_cndmask_b32 v[vgprValuC+51], v6, v8, s[54:55]    // 
v_lshrrev_b32 v[vgprValuC+51], 16, v[vgprValuC+51] // convert C to bf16
v_cmp_u_f32 s[54:55], v[vgprValuC+54], v[vgprValuC+54] // check Nan
v_bfe_u32 v6, v[vgprValuC+54], 16, 1               // Non-Nan case: store lsb of bf16
v_add3_u32 v6, v[vgprValuC+54], v6, v9             // Non-Nan case: add lsb and the increment for rounding
v_cndmask_b32 v[vgprValuC+54], v6, v8, s[54:55]    // 
v_lshrrev_b32 v[vgprValuC+54], 16, v[vgprValuC+54] // convert C to bf16
v_cmp_u_f32 s[54:55], v[vgprValuC+57], v[vgprValuC+57] // check Nan
v_bfe_u32 v6, v[vgprValuC+57], 16, 1               // Non-Nan case: store lsb of bf16
v_add3_u32 v6, v[vgprValuC+57], v6, v9             // Non-Nan case: add lsb and the increment for rounding
v_cndmask_b32 v[vgprValuC+57], v6, v8, s[54:55]    // 
v_lshrrev_b32 v[vgprValuC+57], 16, v[vgprValuC+57] // convert C to bf16
v_cmp_u_f32 s[54:55], v[vgprValuC+60], v[vgprValuC+60] // check Nan
v_bfe_u32 v6, v[vgprValuC+60], 16, 1               // Non-Nan case: store lsb of bf16
v_add3_u32 v6, v[vgprValuC+60], v6, v9             // Non-Nan case: add lsb and the increment for rounding
v_cndmask_b32 v[vgprValuC+60], v6, v8, s[54:55]    // 
v_lshrrev_b32 v[vgprValuC+60], 16, v[vgprValuC+60] // convert C to bf16
v_cmp_u_f32 s[54:55], v[vgprValuC+63], v[vgprValuC+63] // check Nan
v_bfe_u32 v6, v[vgprValuC+63], 16, 1               // Non-Nan case: store lsb of bf16
v_add3_u32 v6, v[vgprValuC+63], v6, v9             // Non-Nan case: add lsb and the increment for rounding
v_cndmask_b32 v[vgprValuC+63], v6, v8, s[54:55]    // 
v_lshrrev_b32 v[vgprValuC+63], 16, v[vgprValuC+63] // convert C to bf16
v_cmp_u_f32 s[54:55], v[vgprValuC+66], v[vgprValuC+66] // check Nan
v_bfe_u32 v6, v[vgprValuC+66], 16, 1               // Non-Nan case: store lsb of bf16
v_add3_u32 v6, v[vgprValuC+66], v6, v9             // Non-Nan case: add lsb and the increment for rounding
v_cndmask_b32 v[vgprValuC+66], v6, v8, s[54:55]    // 
v_lshrrev_b32 v[vgprValuC+66], 16, v[vgprValuC+66] // convert C to bf16
v_cmp_u_f32 s[54:55], v[vgprValuC+69], v[vgprValuC+69] // check Nan
v_bfe_u32 v6, v[vgprValuC+69], 16, 1               // Non-Nan case: store lsb of bf16
v_add3_u32 v6, v[vgprValuC+69], v6, v9             // Non-Nan case: add lsb and the increment for rounding
v_cndmask_b32 v[vgprValuC+69], v6, v8, s[54:55]    // 
v_lshrrev_b32 v[vgprValuC+69], 16, v[vgprValuC+69] // convert C to bf16
v_cmp_u_f32 s[54:55], v[vgprValuC+72], v[vgprValuC+72] // check Nan
v_bfe_u32 v6, v[vgprValuC+72], 16, 1               // Non-Nan case: store lsb of bf16
v_add3_u32 v6, v[vgprValuC+72], v6, v9             // Non-Nan case: add lsb and the increment for rounding
v_cndmask_b32 v[vgprValuC+72], v6, v8, s[54:55]    // 
v_lshrrev_b32 v[vgprValuC+72], 16, v[vgprValuC+72] // convert C to bf16
v_cmp_u_f32 s[54:55], v[vgprValuC+75], v[vgprValuC+75] // check Nan
v_bfe_u32 v6, v[vgprValuC+75], 16, 1               // Non-Nan case: store lsb of bf16
v_add3_u32 v6, v[vgprValuC+75], v6, v9             // Non-Nan case: add lsb and the increment for rounding
v_cndmask_b32 v[vgprValuC+75], v6, v8, s[54:55]    // 
v_lshrrev_b32 v[vgprValuC+75], 16, v[vgprValuC+75] // convert C to bf16
v_cmp_u_f32 s[54:55], v[vgprValuC+78], v[vgprValuC+78] // check Nan
v_bfe_u32 v6, v[vgprValuC+78], 16, 1               // Non-Nan case: store lsb of bf16
v_add3_u32 v6, v[vgprValuC+78], v6, v9             // Non-Nan case: add lsb and the increment for rounding
v_cndmask_b32 v[vgprValuC+78], v6, v8, s[54:55]    // 
v_lshrrev_b32 v[vgprValuC+78], 16, v[vgprValuC+78] // convert C to bf16
v_cmp_u_f32 s[54:55], v[vgprValuC+81], v[vgprValuC+81] // check Nan
v_bfe_u32 v6, v[vgprValuC+81], 16, 1               // Non-Nan case: store lsb of bf16
v_add3_u32 v6, v[vgprValuC+81], v6, v9             // Non-Nan case: add lsb and the increment for rounding
v_cndmask_b32 v[vgprValuC+81], v6, v8, s[54:55]    // 
v_lshrrev_b32 v[vgprValuC+81], 16, v[vgprValuC+81] // convert C to bf16
v_cmp_u_f32 s[54:55], v[vgprValuC+84], v[vgprValuC+84] // check Nan
v_bfe_u32 v6, v[vgprValuC+84], 16, 1               // Non-Nan case: store lsb of bf16
v_add3_u32 v6, v[vgprValuC+84], v6, v9             // Non-Nan case: add lsb and the increment for rounding
v_cndmask_b32 v[vgprValuC+84], v6, v8, s[54:55]    // 
v_lshrrev_b32 v[vgprValuC+84], 16, v[vgprValuC+84] // convert C to bf16
v_cmp_u_f32 s[54:55], v[vgprValuC+87], v[vgprValuC+87] // check Nan
v_bfe_u32 v6, v[vgprValuC+87], 16, 1               // Non-Nan case: store lsb of bf16
v_add3_u32 v6, v[vgprValuC+87], v6, v9             // Non-Nan case: add lsb and the increment for rounding
v_cndmask_b32 v[vgprValuC+87], v6, v8, s[54:55]    // 
v_lshrrev_b32 v[vgprValuC+87], 16, v[vgprValuC+87] // convert C to bf16
v_cmp_u_f32 s[54:55], v[vgprValuC+90], v[vgprValuC+90] // check Nan
v_bfe_u32 v6, v[vgprValuC+90], 16, 1               // Non-Nan case: store lsb of bf16
v_add3_u32 v6, v[vgprValuC+90], v6, v9             // Non-Nan case: add lsb and the increment for rounding
v_cndmask_b32 v[vgprValuC+90], v6, v8, s[54:55]    // 
v_lshrrev_b32 v[vgprValuC+90], 16, v[vgprValuC+90] // convert C to bf16
v_cmp_u_f32 s[54:55], v[vgprValuC+93], v[vgprValuC+93] // check Nan
v_bfe_u32 v6, v[vgprValuC+93], 16, 1               // Non-Nan case: store lsb of bf16
v_add3_u32 v6, v[vgprValuC+93], v6, v9             // Non-Nan case: add lsb and the increment for rounding
v_cndmask_b32 v[vgprValuC+93], v6, v8, s[54:55]    // 
v_lshrrev_b32 v[vgprValuC+93], 16, v[vgprValuC+93] // convert C to bf16
v_cmp_u_f32 s[54:55], v[vgprValuC+96], v[vgprValuC+96] // check Nan
v_bfe_u32 v6, v[vgprValuC+96], 16, 1               // Non-Nan case: store lsb of bf16
v_add3_u32 v6, v[vgprValuC+96], v6, v9             // Non-Nan case: add lsb and the increment for rounding
v_cndmask_b32 v[vgprValuC+96], v6, v8, s[54:55]    // 
v_lshrrev_b32 v[vgprValuC+96], 16, v[vgprValuC+96] // convert C to bf16
v_cmp_u_f32 s[54:55], v[vgprValuC+99], v[vgprValuC+99] // check Nan
v_bfe_u32 v6, v[vgprValuC+99], 16, 1               // Non-Nan case: store lsb of bf16
v_add3_u32 v6, v[vgprValuC+99], v6, v9             // Non-Nan case: add lsb and the increment for rounding
v_cndmask_b32 v[vgprValuC+99], v6, v8, s[54:55]    // 
v_lshrrev_b32 v[vgprValuC+99], 16, v[vgprValuC+99] // convert C to bf16
v_cmp_u_f32 s[54:55], v[vgprValuC+102], v[vgprValuC+102] // check Nan
v_bfe_u32 v6, v[vgprValuC+102], 16, 1              // Non-Nan case: store lsb of bf16
v_add3_u32 v6, v[vgprValuC+102], v6, v9            // Non-Nan case: add lsb and the increment for rounding
v_cndmask_b32 v[vgprValuC+102], v6, v8, s[54:55]   // 
v_lshrrev_b32 v[vgprValuC+102], 16, v[vgprValuC+102] // convert C to bf16
v_cmp_u_f32 s[54:55], v[vgprValuC+105], v[vgprValuC+105] // check Nan
v_bfe_u32 v6, v[vgprValuC+105], 16, 1              // Non-Nan case: store lsb of bf16
v_add3_u32 v6, v[vgprValuC+105], v6, v9            // Non-Nan case: add lsb and the increment for rounding
v_cndmask_b32 v[vgprValuC+105], v6, v8, s[54:55]   // 
v_lshrrev_b32 v[vgprValuC+105], 16, v[vgprValuC+105] // convert C to bf16
	;; [unrolled: 5-line block ×50, first 2 shown]
_buffer_store_b16 v12, v10, s[sgprSrdD:sgprSrdD+3], 0, offen, offset:0,  sc0 sc1 // store D
_buffer_store_b16 v15, v13, s[sgprSrdD:sgprSrdD+3], 0, offen, offset:0,  sc0 sc1 // store D
	;; [unrolled: 1-line block ×80, first 2 shown]
s_nop 0                                            // 1 wait state required when next inst writes vgprs held by previous dwordx4 store inst
/* optSingleColVgpr=0 optSharedColVgpr=0 optSGPRUsage=BufferLoad_Edge_Mask optSrdIncForRow=0 */
s_sleep 5 // optimization: sync and wait
s_barrier

/******************************************/
/* Global Write Alpha Edge Batch #2 (d1,d0,vc1,vc0) = */
/*    (2,0,2,0:vw1); (2,0,2,1:vw1); (2,0,2,2:vw1); (2,0,2,3:vw1); (2,1,2,0:vw1); (2,1,2,1:vw1); (2,1,2,2:vw1); (2,1,2,3:vw1); (2,2,2,0:vw1); (2,2,2,1:vw1); (2,2,2,2:vw1); (2,2,2,3:vw1); (2,3,2,0:vw1); (2,3,2,1:vw1); (2,3,2,2:vw1); (2,3,2,3:vw1); (2,0,3,0:vw1); (2,0,3,1:vw1); (2,0,3,2:vw1); (2,0,3,3:vw1); (2,1,3,0:vw1); (2,1,3,1:vw1); (2,1,3,2:vw1); (2,1,3,3:vw1); (2,2,3,0:vw1); (2,2,3,1:vw1); (2,2,3,2:vw1); (2,2,3,3:vw1); (2,3,3,0:vw1); (2,3,3,1:vw1); (2,3,3,2:vw1); (2,3,3,3:vw1); (3,0,0,0:vw1); (3,0,0,1:vw1); (3,0,0,2:vw1); (3,0,0,3:vw1); (3,1,0,0:vw1); (3,1,0,1:vw1); (3,1,0,2:vw1); (3,1,0,3:vw1); (3,2,0,0:vw1); (3,2,0,1:vw1); (3,2,0,2:vw1); (3,2,0,3:vw1); (3,3,0,0:vw1); (3,3,0,1:vw1); (3,3,0,2:vw1); (3,3,0,3:vw1); (3,0,1,0:vw1); (3,0,1,1:vw1); (3,0,1,2:vw1); (3,0,1,3:vw1); (3,1,1,0:vw1); (3,1,1,1:vw1); (3,1,1,2:vw1); (3,1,1,3:vw1); (3,2,1,0:vw1); (3,2,1,1:vw1); (3,2,1,2:vw1); (3,2,1,3:vw1); (3,3,1,0:vw1); (3,3,1,1:vw1); (3,3,1,2:vw1); (3,3,1,3:vw1); (3,0,2,0:vw1); (3,0,2,1:vw1); (3,0,2,2:vw1); (3,0,2,3:vw1); (3,1,2,0:vw1); (3,1,2,1:vw1); (3,1,2,2:vw1); (3,1,2,3:vw1); (3,2,2,0:vw1); (3,2,2,1:vw1); (3,2,2,2:vw1); (3,2,2,3:vw1); (3,3,2,0:vw1); (3,3,2,1:vw1); (3,3,2,2:vw1); (3,3,2,3:vw1) */
/******************************************/

/* calc coords, apply mask, and issue loads (if necessary) */
/* (d1,vc1,d0,vc0)=(2,2,0,0) */
_v_add_co_u32 v1, vcc, v1, 1                       // coord1.1: coord1Vgpr += d1*sg1*VW + vc1

/* Fix for UseInitialStridesCD, emitAddressSetupCode */
_v_add_u32 v2, v2, s[sgprStrideC1J]                // ROWINC- Move cinRowPtr to next row
_v_add_u32 v3, v3, s[sgprStrideD1J]                // Move coutRowPtr to next row
v_cmp_lt_u32 s[54:55], v0, s[sgprSizeI]            // coord0 < size0
v_cmp_lt_u32 s[58:59], v1, s[sgprSizeJ]            // coord1 < size1
s_and_b64 s[58:59], s[54:55], s[58:59]             // in0 && in1
_v_add_lshl_u32 v10, v3, v0, 0x1                   // scaleToBpe: accumulate d0 lower and *= bpe into Cin addr
v_cndmask_b32 v10, -1, v10, s[58:59]               // LDD clip if OOB. offset
/* (d1,vc1,d0,vc0)=(2,2,0,1) */
_v_add_co_u32 v4, vcc, v0, 1                       // coord0.1: coord0 += d0*sg0*VW + vc0
v_cmp_lt_u32 s[54:55], v4, s[sgprSizeI]            // coord0 < size0
v_cmp_lt_u32 s[58:59], v1, s[sgprSizeJ]            // coord1 < size1
s_and_b64 s[58:59], s[54:55], s[58:59]             // in0 && in1
_v_add_lshl_u32 v13, v3, v4, 0x1                   // scaleToBpe: accumulate d0 lower and *= bpe into Cin addr
v_cndmask_b32 v13, -1, v13, s[58:59]               // LDD clip if OOB. offset
/* (d1,vc1,d0,vc0)=(2,2,0,2) */
_v_add_co_u32 v4, vcc, v0, 2                       // coord0.1: coord0 += d0*sg0*VW + vc0
	;; [unrolled: 7-line block ×3, first 2 shown]
v_cmp_lt_u32 s[54:55], v4, s[sgprSizeI]            // coord0 < size0
v_cmp_lt_u32 s[58:59], v1, s[sgprSizeJ]            // coord1 < size1
s_and_b64 s[58:59], s[54:55], s[58:59]             // in0 && in1
_v_add_lshl_u32 v19, v3, v4, 0x1                   // scaleToBpe: accumulate d0 lower and *= bpe into Cin addr
v_cndmask_b32 v19, -1, v19, s[58:59]               // LDD clip if OOB. offset
/* (d1,vc1,d0,vc0)=(2,2,1,0) */
_v_add_co_u32 v4, vcc, v0, 64                      // coord0.1: coord0 += d0*sg0*VW + vc0
v_cmp_lt_u32 s[54:55], v4, s[sgprSizeI]            // coord0 < size0
v_cmp_lt_u32 s[58:59], v1, s[sgprSizeJ]            // coord1 < size1
s_and_b64 s[58:59], s[54:55], s[58:59]             // in0 && in1
_v_add_lshl_u32 v22, v3, v4, 0x1                   // scaleToBpe: accumulate d0 lower and *= bpe into Cin addr
v_cndmask_b32 v22, -1, v22, s[58:59]               // LDD clip if OOB. offset
/* (d1,vc1,d0,vc0)=(2,2,1,1) */
s_mov_b32 s54, 65                                  // coordOffset0 d0=1 vc0=1
_v_add_co_u32 v4, vcc, v0, s54                     // coord0.2: coord0 += d0*sg0*VW + vc0
v_cmp_lt_u32 s[54:55], v4, s[sgprSizeI]            // coord0 < size0
v_cmp_lt_u32 s[58:59], v1, s[sgprSizeJ]            // coord1 < size1
s_and_b64 s[58:59], s[54:55], s[58:59]             // in0 && in1
_v_add_lshl_u32 v25, v3, v4, 0x1                   // scaleToBpe: accumulate d0 lower and *= bpe into Cin addr
v_cndmask_b32 v25, -1, v25, s[58:59]               // LDD clip if OOB. offset
/* (d1,vc1,d0,vc0)=(2,2,1,2) */
s_mov_b32 s54, 66                                  // coordOffset0 d0=1 vc0=2
_v_add_co_u32 v4, vcc, v0, s54                     // coord0.2: coord0 += d0*sg0*VW + vc0
	;; [unrolled: 8-line block ×3, first 2 shown]
v_cmp_lt_u32 s[54:55], v4, s[sgprSizeI]            // coord0 < size0
v_cmp_lt_u32 s[58:59], v1, s[sgprSizeJ]            // coord1 < size1
s_and_b64 s[58:59], s[54:55], s[58:59]             // in0 && in1
_v_add_lshl_u32 v31, v3, v4, 0x1                   // scaleToBpe: accumulate d0 lower and *= bpe into Cin addr
v_cndmask_b32 v31, -1, v31, s[58:59]               // LDD clip if OOB. offset
/* (d1,vc1,d0,vc0)=(2,2,2,0) */
s_mov_b32 s54, 128                                 // coordOffset0 d0=2 vc0=0
_v_add_co_u32 v4, vcc, v0, s54                     // coord0.2: coord0 += d0*sg0*VW + vc0
v_cmp_lt_u32 s[54:55], v4, s[sgprSizeI]            // coord0 < size0
v_cmp_lt_u32 s[58:59], v1, s[sgprSizeJ]            // coord1 < size1
s_and_b64 s[58:59], s[54:55], s[58:59]             // in0 && in1
_v_add_lshl_u32 v34, v3, v4, 0x1                   // scaleToBpe: accumulate d0 lower and *= bpe into Cin addr
v_cndmask_b32 v34, -1, v34, s[58:59]               // LDD clip if OOB. offset
/* (d1,vc1,d0,vc0)=(2,2,2,1) */
s_mov_b32 s54, 129                                 // coordOffset0 d0=2 vc0=1
_v_add_co_u32 v4, vcc, v0, s54                     // coord0.2: coord0 += d0*sg0*VW + vc0
	;; [unrolled: 8-line block ×8, first 2 shown]
v_cmp_lt_u32 s[54:55], v4, s[sgprSizeI]            // coord0 < size0
v_cmp_lt_u32 s[58:59], v1, s[sgprSizeJ]            // coord1 < size1
s_and_b64 s[58:59], s[54:55], s[58:59]             // in0 && in1
_v_add_lshl_u32 v55, v3, v4, 0x1                   // scaleToBpe: accumulate d0 lower and *= bpe into Cin addr
v_cndmask_b32 v55, -1, v55, s[58:59]               // LDD clip if OOB. offset
/* (d1,vc1,d0,vc0)=(2,3,0,0) */
_v_add_co_u32 v1, vcc, v1, 1                       // coord1.1: coord1Vgpr += d1*sg1*VW + vc1

/* Fix for UseInitialStridesCD, emitAddressSetupCode */
_v_add_u32 v2, v2, s[sgprStrideC1J]                // ROWINC- Move cinRowPtr to next row
_v_add_u32 v3, v3, s[sgprStrideD1J]                // Move coutRowPtr to next row
v_cmp_lt_u32 s[54:55], v0, s[sgprSizeI]            // coord0 < size0
v_cmp_lt_u32 s[58:59], v1, s[sgprSizeJ]            // coord1 < size1
s_and_b64 s[58:59], s[54:55], s[58:59]             // in0 && in1
_v_add_lshl_u32 v58, v3, v0, 0x1                   // scaleToBpe: accumulate d0 lower and *= bpe into Cin addr
v_cndmask_b32 v58, -1, v58, s[58:59]               // LDD clip if OOB. offset
/* (d1,vc1,d0,vc0)=(2,3,0,1) */
_v_add_co_u32 v4, vcc, v0, 1                       // coord0.1: coord0 += d0*sg0*VW + vc0
v_cmp_lt_u32 s[54:55], v4, s[sgprSizeI]            // coord0 < size0
v_cmp_lt_u32 s[58:59], v1, s[sgprSizeJ]            // coord1 < size1
s_and_b64 s[58:59], s[54:55], s[58:59]             // in0 && in1
_v_add_lshl_u32 v61, v3, v4, 0x1                   // scaleToBpe: accumulate d0 lower and *= bpe into Cin addr
v_cndmask_b32 v61, -1, v61, s[58:59]               // LDD clip if OOB. offset
/* (d1,vc1,d0,vc0)=(2,3,0,2) */
_v_add_co_u32 v4, vcc, v0, 2                       // coord0.1: coord0 += d0*sg0*VW + vc0
	;; [unrolled: 7-line block ×3, first 2 shown]
v_cmp_lt_u32 s[54:55], v4, s[sgprSizeI]            // coord0 < size0
v_cmp_lt_u32 s[58:59], v1, s[sgprSizeJ]            // coord1 < size1
s_and_b64 s[58:59], s[54:55], s[58:59]             // in0 && in1
_v_add_lshl_u32 v67, v3, v4, 0x1                   // scaleToBpe: accumulate d0 lower and *= bpe into Cin addr
v_cndmask_b32 v67, -1, v67, s[58:59]               // LDD clip if OOB. offset
/* (d1,vc1,d0,vc0)=(2,3,1,0) */
_v_add_co_u32 v4, vcc, v0, 64                      // coord0.1: coord0 += d0*sg0*VW + vc0
v_cmp_lt_u32 s[54:55], v4, s[sgprSizeI]            // coord0 < size0
v_cmp_lt_u32 s[58:59], v1, s[sgprSizeJ]            // coord1 < size1
s_and_b64 s[58:59], s[54:55], s[58:59]             // in0 && in1
_v_add_lshl_u32 v70, v3, v4, 0x1                   // scaleToBpe: accumulate d0 lower and *= bpe into Cin addr
v_cndmask_b32 v70, -1, v70, s[58:59]               // LDD clip if OOB. offset
/* (d1,vc1,d0,vc0)=(2,3,1,1) */
s_mov_b32 s54, 65                                  // coordOffset0 d0=1 vc0=1
_v_add_co_u32 v4, vcc, v0, s54                     // coord0.2: coord0 += d0*sg0*VW + vc0
v_cmp_lt_u32 s[54:55], v4, s[sgprSizeI]            // coord0 < size0
v_cmp_lt_u32 s[58:59], v1, s[sgprSizeJ]            // coord1 < size1
s_and_b64 s[58:59], s[54:55], s[58:59]             // in0 && in1
_v_add_lshl_u32 v73, v3, v4, 0x1                   // scaleToBpe: accumulate d0 lower and *= bpe into Cin addr
v_cndmask_b32 v73, -1, v73, s[58:59]               // LDD clip if OOB. offset
/* (d1,vc1,d0,vc0)=(2,3,1,2) */
s_mov_b32 s54, 66                                  // coordOffset0 d0=1 vc0=2
_v_add_co_u32 v4, vcc, v0, s54                     // coord0.2: coord0 += d0*sg0*VW + vc0
	;; [unrolled: 8-line block ×3, first 2 shown]
v_cmp_lt_u32 s[54:55], v4, s[sgprSizeI]            // coord0 < size0
v_cmp_lt_u32 s[58:59], v1, s[sgprSizeJ]            // coord1 < size1
s_and_b64 s[58:59], s[54:55], s[58:59]             // in0 && in1
_v_add_lshl_u32 v79, v3, v4, 0x1                   // scaleToBpe: accumulate d0 lower and *= bpe into Cin addr
v_cndmask_b32 v79, -1, v79, s[58:59]               // LDD clip if OOB. offset
/* (d1,vc1,d0,vc0)=(2,3,2,0) */
s_mov_b32 s54, 128                                 // coordOffset0 d0=2 vc0=0
_v_add_co_u32 v4, vcc, v0, s54                     // coord0.2: coord0 += d0*sg0*VW + vc0
v_cmp_lt_u32 s[54:55], v4, s[sgprSizeI]            // coord0 < size0
v_cmp_lt_u32 s[58:59], v1, s[sgprSizeJ]            // coord1 < size1
s_and_b64 s[58:59], s[54:55], s[58:59]             // in0 && in1
_v_add_lshl_u32 v82, v3, v4, 0x1                   // scaleToBpe: accumulate d0 lower and *= bpe into Cin addr
v_cndmask_b32 v82, -1, v82, s[58:59]               // LDD clip if OOB. offset
/* (d1,vc1,d0,vc0)=(2,3,2,1) */
s_mov_b32 s54, 129                                 // coordOffset0 d0=2 vc0=1
_v_add_co_u32 v4, vcc, v0, s54                     // coord0.2: coord0 += d0*sg0*VW + vc0
	;; [unrolled: 8-line block ×7, first 2 shown]
v_cmp_lt_u32 s[54:55], v4, s[sgprSizeI]            // coord0 < size0
v_cmp_lt_u32 s[58:59], v1, s[sgprSizeJ]            // coord1 < size1
s_and_b64 s[58:59], s[54:55], s[58:59]             // in0 && in1
_v_add_lshl_u32 v100, v3, v4, 0x1                  // scaleToBpe: accumulate d0 lower and *= bpe into Cin addr
v_cndmask_b32 v100, -1, v100, s[58:59]             // LDD clip if OOB. offset
/* (d1,vc1,d0,vc0)=(2,3,3,3) */
s_mov_b32 s54, 195                                 // coordOffset0 d0=3 vc0=3
_v_add_co_u32 v4, vcc, v0, s54                     // coord0.2: coord0 += d0*sg0*VW + vc0
v_cmp_lt_u32 s[54:55], v4, s[sgprSizeI]            // coord0 < size0
v_cmp_lt_u32 s[58:59], v1, s[sgprSizeJ]            // coord1 < size1
s_and_b64 s[58:59], s[54:55], s[58:59]             // in0 && in1
_v_add_lshl_u32 v103, v3, v4, 0x1                  // scaleToBpe: accumulate d0 lower and *= bpe into Cin addr
v_cndmask_b32 v103, -1, v103, s[58:59]             // LDD clip if OOB. offset
/* (d1,vc1,d0,vc0)=(3,0,0,0) */
_v_add_co_u32 v1, vcc, v1, 61                      // coord1.1: coord1Vgpr += d1*sg1*VW + vc1

/* Fix for UseInitialStridesCD, emitAddressSetupCode */
s_mul_i32 s54, s[sgprStrideC1J], 61                // scale stride
_v_add_u32 v2, v2, s54                             // ROWINC- Move cinRowPtr to next row
s_mul_i32 s54, s[sgprStrideD1J], 61                // scale stride
_v_add_u32 v3, v3, s54                             // Move coutRowPtr to next row
v_cmp_lt_u32 s[54:55], v0, s[sgprSizeI]            // coord0 < size0
v_cmp_lt_u32 s[58:59], v1, s[sgprSizeJ]            // coord1 < size1
s_and_b64 s[58:59], s[54:55], s[58:59]             // in0 && in1
_v_add_lshl_u32 v106, v3, v0, 0x1                  // scaleToBpe: accumulate d0 lower and *= bpe into Cin addr
v_cndmask_b32 v106, -1, v106, s[58:59]             // LDD clip if OOB. offset
/* (d1,vc1,d0,vc0)=(3,0,0,1) */
_v_add_co_u32 v4, vcc, v0, 1                       // coord0.1: coord0 += d0*sg0*VW + vc0
v_cmp_lt_u32 s[54:55], v4, s[sgprSizeI]            // coord0 < size0
v_cmp_lt_u32 s[58:59], v1, s[sgprSizeJ]            // coord1 < size1
s_and_b64 s[58:59], s[54:55], s[58:59]             // in0 && in1
_v_add_lshl_u32 v109, v3, v4, 0x1                  // scaleToBpe: accumulate d0 lower and *= bpe into Cin addr
v_cndmask_b32 v109, -1, v109, s[58:59]             // LDD clip if OOB. offset
/* (d1,vc1,d0,vc0)=(3,0,0,2) */
_v_add_co_u32 v4, vcc, v0, 2                       // coord0.1: coord0 += d0*sg0*VW + vc0
	;; [unrolled: 7-line block ×3, first 2 shown]
v_cmp_lt_u32 s[54:55], v4, s[sgprSizeI]            // coord0 < size0
v_cmp_lt_u32 s[58:59], v1, s[sgprSizeJ]            // coord1 < size1
s_and_b64 s[58:59], s[54:55], s[58:59]             // in0 && in1
_v_add_lshl_u32 v115, v3, v4, 0x1                  // scaleToBpe: accumulate d0 lower and *= bpe into Cin addr
v_cndmask_b32 v115, -1, v115, s[58:59]             // LDD clip if OOB. offset
/* (d1,vc1,d0,vc0)=(3,0,1,0) */
_v_add_co_u32 v4, vcc, v0, 64                      // coord0.1: coord0 += d0*sg0*VW + vc0
v_cmp_lt_u32 s[54:55], v4, s[sgprSizeI]            // coord0 < size0
v_cmp_lt_u32 s[58:59], v1, s[sgprSizeJ]            // coord1 < size1
s_and_b64 s[58:59], s[54:55], s[58:59]             // in0 && in1
_v_add_lshl_u32 v121, v3, v4, 0x1                  // scaleToBpe: accumulate d0 lower and *= bpe into Cin addr
v_cndmask_b32 v121, -1, v121, s[58:59]             // LDD clip if OOB. offset
/* (d1,vc1,d0,vc0)=(3,0,1,1) */
s_mov_b32 s54, 65                                  // coordOffset0 d0=1 vc0=1
_v_add_co_u32 v4, vcc, v0, s54                     // coord0.2: coord0 += d0*sg0*VW + vc0
v_cmp_lt_u32 s[54:55], v4, s[sgprSizeI]            // coord0 < size0
v_cmp_lt_u32 s[58:59], v1, s[sgprSizeJ]            // coord1 < size1
s_and_b64 s[58:59], s[54:55], s[58:59]             // in0 && in1
_v_add_lshl_u32 v124, v3, v4, 0x1                  // scaleToBpe: accumulate d0 lower and *= bpe into Cin addr
v_cndmask_b32 v124, -1, v124, s[58:59]             // LDD clip if OOB. offset
/* (d1,vc1,d0,vc0)=(3,0,1,2) */
s_mov_b32 s54, 66                                  // coordOffset0 d0=1 vc0=2
_v_add_co_u32 v4, vcc, v0, s54                     // coord0.2: coord0 += d0*sg0*VW + vc0
	;; [unrolled: 8-line block ×3, first 2 shown]
v_cmp_lt_u32 s[54:55], v4, s[sgprSizeI]            // coord0 < size0
v_cmp_lt_u32 s[58:59], v1, s[sgprSizeJ]            // coord1 < size1
s_and_b64 s[58:59], s[54:55], s[58:59]             // in0 && in1
_v_add_lshl_u32 v130, v3, v4, 0x1                  // scaleToBpe: accumulate d0 lower and *= bpe into Cin addr
v_cndmask_b32 v130, -1, v130, s[58:59]             // LDD clip if OOB. offset
/* (d1,vc1,d0,vc0)=(3,0,2,0) */
s_mov_b32 s54, 128                                 // coordOffset0 d0=2 vc0=0
_v_add_co_u32 v4, vcc, v0, s54                     // coord0.2: coord0 += d0*sg0*VW + vc0
v_cmp_lt_u32 s[54:55], v4, s[sgprSizeI]            // coord0 < size0
v_cmp_lt_u32 s[58:59], v1, s[sgprSizeJ]            // coord1 < size1
s_and_b64 s[58:59], s[54:55], s[58:59]             // in0 && in1
_v_add_lshl_u32 v133, v3, v4, 0x1                  // scaleToBpe: accumulate d0 lower and *= bpe into Cin addr
v_cndmask_b32 v133, -1, v133, s[58:59]             // LDD clip if OOB. offset
/* (d1,vc1,d0,vc0)=(3,0,2,1) */
s_mov_b32 s54, 129                                 // coordOffset0 d0=2 vc0=1
_v_add_co_u32 v4, vcc, v0, s54                     // coord0.2: coord0 += d0*sg0*VW + vc0
	;; [unrolled: 8-line block ×8, first 2 shown]
v_cmp_lt_u32 s[54:55], v4, s[sgprSizeI]            // coord0 < size0
v_cmp_lt_u32 s[58:59], v1, s[sgprSizeJ]            // coord1 < size1
s_and_b64 s[58:59], s[54:55], s[58:59]             // in0 && in1
_v_add_lshl_u32 v154, v3, v4, 0x1                  // scaleToBpe: accumulate d0 lower and *= bpe into Cin addr
v_cndmask_b32 v154, -1, v154, s[58:59]             // LDD clip if OOB. offset
/* (d1,vc1,d0,vc0)=(3,1,0,0) */
_v_add_co_u32 v1, vcc, v1, 1                       // coord1.1: coord1Vgpr += d1*sg1*VW + vc1

/* Fix for UseInitialStridesCD, emitAddressSetupCode */
_v_add_u32 v2, v2, s[sgprStrideC1J]                // ROWINC- Move cinRowPtr to next row
_v_add_u32 v3, v3, s[sgprStrideD1J]                // Move coutRowPtr to next row
v_cmp_lt_u32 s[54:55], v0, s[sgprSizeI]            // coord0 < size0
v_cmp_lt_u32 s[58:59], v1, s[sgprSizeJ]            // coord1 < size1
s_and_b64 s[58:59], s[54:55], s[58:59]             // in0 && in1
_v_add_lshl_u32 v157, v3, v0, 0x1                  // scaleToBpe: accumulate d0 lower and *= bpe into Cin addr
v_cndmask_b32 v157, -1, v157, s[58:59]             // LDD clip if OOB. offset
/* (d1,vc1,d0,vc0)=(3,1,0,1) */
_v_add_co_u32 v4, vcc, v0, 1                       // coord0.1: coord0 += d0*sg0*VW + vc0
v_cmp_lt_u32 s[54:55], v4, s[sgprSizeI]            // coord0 < size0
v_cmp_lt_u32 s[58:59], v1, s[sgprSizeJ]            // coord1 < size1
s_and_b64 s[58:59], s[54:55], s[58:59]             // in0 && in1
_v_add_lshl_u32 v160, v3, v4, 0x1                  // scaleToBpe: accumulate d0 lower and *= bpe into Cin addr
v_cndmask_b32 v160, -1, v160, s[58:59]             // LDD clip if OOB. offset
/* (d1,vc1,d0,vc0)=(3,1,0,2) */
_v_add_co_u32 v4, vcc, v0, 2                       // coord0.1: coord0 += d0*sg0*VW + vc0
	;; [unrolled: 7-line block ×3, first 2 shown]
v_cmp_lt_u32 s[54:55], v4, s[sgprSizeI]            // coord0 < size0
v_cmp_lt_u32 s[58:59], v1, s[sgprSizeJ]            // coord1 < size1
s_and_b64 s[58:59], s[54:55], s[58:59]             // in0 && in1
_v_add_lshl_u32 v166, v3, v4, 0x1                  // scaleToBpe: accumulate d0 lower and *= bpe into Cin addr
v_cndmask_b32 v166, -1, v166, s[58:59]             // LDD clip if OOB. offset
/* (d1,vc1,d0,vc0)=(3,1,1,0) */
_v_add_co_u32 v4, vcc, v0, 64                      // coord0.1: coord0 += d0*sg0*VW + vc0
v_cmp_lt_u32 s[54:55], v4, s[sgprSizeI]            // coord0 < size0
v_cmp_lt_u32 s[58:59], v1, s[sgprSizeJ]            // coord1 < size1
s_and_b64 s[58:59], s[54:55], s[58:59]             // in0 && in1
_v_add_lshl_u32 v169, v3, v4, 0x1                  // scaleToBpe: accumulate d0 lower and *= bpe into Cin addr
v_cndmask_b32 v169, -1, v169, s[58:59]             // LDD clip if OOB. offset
/* (d1,vc1,d0,vc0)=(3,1,1,1) */
s_mov_b32 s54, 65                                  // coordOffset0 d0=1 vc0=1
_v_add_co_u32 v4, vcc, v0, s54                     // coord0.2: coord0 += d0*sg0*VW + vc0
v_cmp_lt_u32 s[54:55], v4, s[sgprSizeI]            // coord0 < size0
v_cmp_lt_u32 s[58:59], v1, s[sgprSizeJ]            // coord1 < size1
s_and_b64 s[58:59], s[54:55], s[58:59]             // in0 && in1
_v_add_lshl_u32 v172, v3, v4, 0x1                  // scaleToBpe: accumulate d0 lower and *= bpe into Cin addr
v_cndmask_b32 v172, -1, v172, s[58:59]             // LDD clip if OOB. offset
/* (d1,vc1,d0,vc0)=(3,1,1,2) */
s_mov_b32 s54, 66                                  // coordOffset0 d0=1 vc0=2
_v_add_co_u32 v4, vcc, v0, s54                     // coord0.2: coord0 += d0*sg0*VW + vc0
	;; [unrolled: 8-line block ×3, first 2 shown]
v_cmp_lt_u32 s[54:55], v4, s[sgprSizeI]            // coord0 < size0
v_cmp_lt_u32 s[58:59], v1, s[sgprSizeJ]            // coord1 < size1
s_and_b64 s[58:59], s[54:55], s[58:59]             // in0 && in1
_v_add_lshl_u32 v178, v3, v4, 0x1                  // scaleToBpe: accumulate d0 lower and *= bpe into Cin addr
v_cndmask_b32 v178, -1, v178, s[58:59]             // LDD clip if OOB. offset
/* (d1,vc1,d0,vc0)=(3,1,2,0) */
s_mov_b32 s54, 128                                 // coordOffset0 d0=2 vc0=0
_v_add_co_u32 v4, vcc, v0, s54                     // coord0.2: coord0 += d0*sg0*VW + vc0
v_cmp_lt_u32 s[54:55], v4, s[sgprSizeI]            // coord0 < size0
v_cmp_lt_u32 s[58:59], v1, s[sgprSizeJ]            // coord1 < size1
s_and_b64 s[58:59], s[54:55], s[58:59]             // in0 && in1
_v_add_lshl_u32 v181, v3, v4, 0x1                  // scaleToBpe: accumulate d0 lower and *= bpe into Cin addr
v_cndmask_b32 v181, -1, v181, s[58:59]             // LDD clip if OOB. offset
/* (d1,vc1,d0,vc0)=(3,1,2,1) */
s_mov_b32 s54, 129                                 // coordOffset0 d0=2 vc0=1
_v_add_co_u32 v4, vcc, v0, s54                     // coord0.2: coord0 += d0*sg0*VW + vc0
	;; [unrolled: 8-line block ×8, first 2 shown]
v_cmp_lt_u32 s[54:55], v4, s[sgprSizeI]            // coord0 < size0
v_cmp_lt_u32 s[58:59], v1, s[sgprSizeJ]            // coord1 < size1
s_and_b64 s[58:59], s[54:55], s[58:59]             // in0 && in1
_v_add_lshl_u32 v202, v3, v4, 0x1                  // scaleToBpe: accumulate d0 lower and *= bpe into Cin addr
v_cndmask_b32 v202, -1, v202, s[58:59]             // LDD clip if OOB. offset
/* (d1,vc1,d0,vc0)=(3,2,0,0) */
_v_add_co_u32 v1, vcc, v1, 1                       // coord1.1: coord1Vgpr += d1*sg1*VW + vc1

/* Fix for UseInitialStridesCD, emitAddressSetupCode */
_v_add_u32 v2, v2, s[sgprStrideC1J]                // ROWINC- Move cinRowPtr to next row
_v_add_u32 v3, v3, s[sgprStrideD1J]                // Move coutRowPtr to next row
v_cmp_lt_u32 s[54:55], v0, s[sgprSizeI]            // coord0 < size0
v_cmp_lt_u32 s[58:59], v1, s[sgprSizeJ]            // coord1 < size1
s_and_b64 s[58:59], s[54:55], s[58:59]             // in0 && in1
_v_add_lshl_u32 v205, v3, v0, 0x1                  // scaleToBpe: accumulate d0 lower and *= bpe into Cin addr
v_cndmask_b32 v205, -1, v205, s[58:59]             // LDD clip if OOB. offset
/* (d1,vc1,d0,vc0)=(3,2,0,1) */
_v_add_co_u32 v4, vcc, v0, 1                       // coord0.1: coord0 += d0*sg0*VW + vc0
v_cmp_lt_u32 s[54:55], v4, s[sgprSizeI]            // coord0 < size0
v_cmp_lt_u32 s[58:59], v1, s[sgprSizeJ]            // coord1 < size1
s_and_b64 s[58:59], s[54:55], s[58:59]             // in0 && in1
_v_add_lshl_u32 v208, v3, v4, 0x1                  // scaleToBpe: accumulate d0 lower and *= bpe into Cin addr
v_cndmask_b32 v208, -1, v208, s[58:59]             // LDD clip if OOB. offset
/* (d1,vc1,d0,vc0)=(3,2,0,2) */
_v_add_co_u32 v4, vcc, v0, 2                       // coord0.1: coord0 += d0*sg0*VW + vc0
	;; [unrolled: 7-line block ×3, first 2 shown]
v_cmp_lt_u32 s[54:55], v4, s[sgprSizeI]            // coord0 < size0
v_cmp_lt_u32 s[58:59], v1, s[sgprSizeJ]            // coord1 < size1
s_and_b64 s[58:59], s[54:55], s[58:59]             // in0 && in1
_v_add_lshl_u32 v214, v3, v4, 0x1                  // scaleToBpe: accumulate d0 lower and *= bpe into Cin addr
v_cndmask_b32 v214, -1, v214, s[58:59]             // LDD clip if OOB. offset
/* (d1,vc1,d0,vc0)=(3,2,1,0) */
_v_add_co_u32 v4, vcc, v0, 64                      // coord0.1: coord0 += d0*sg0*VW + vc0
v_cmp_lt_u32 s[54:55], v4, s[sgprSizeI]            // coord0 < size0
v_cmp_lt_u32 s[58:59], v1, s[sgprSizeJ]            // coord1 < size1
s_and_b64 s[58:59], s[54:55], s[58:59]             // in0 && in1
_v_add_lshl_u32 v217, v3, v4, 0x1                  // scaleToBpe: accumulate d0 lower and *= bpe into Cin addr
v_cndmask_b32 v217, -1, v217, s[58:59]             // LDD clip if OOB. offset
/* (d1,vc1,d0,vc0)=(3,2,1,1) */
s_mov_b32 s54, 65                                  // coordOffset0 d0=1 vc0=1
_v_add_co_u32 v4, vcc, v0, s54                     // coord0.2: coord0 += d0*sg0*VW + vc0
v_cmp_lt_u32 s[54:55], v4, s[sgprSizeI]            // coord0 < size0
v_cmp_lt_u32 s[58:59], v1, s[sgprSizeJ]            // coord1 < size1
s_and_b64 s[58:59], s[54:55], s[58:59]             // in0 && in1
_v_add_lshl_u32 v220, v3, v4, 0x1                  // scaleToBpe: accumulate d0 lower and *= bpe into Cin addr
v_cndmask_b32 v220, -1, v220, s[58:59]             // LDD clip if OOB. offset
/* (d1,vc1,d0,vc0)=(3,2,1,2) */
s_mov_b32 s54, 66                                  // coordOffset0 d0=1 vc0=2
_v_add_co_u32 v4, vcc, v0, s54                     // coord0.2: coord0 += d0*sg0*VW + vc0
	;; [unrolled: 8-line block ×3, first 2 shown]
v_cmp_lt_u32 s[54:55], v4, s[sgprSizeI]            // coord0 < size0
v_cmp_lt_u32 s[58:59], v1, s[sgprSizeJ]            // coord1 < size1
s_and_b64 s[58:59], s[54:55], s[58:59]             // in0 && in1
_v_add_lshl_u32 v226, v3, v4, 0x1                  // scaleToBpe: accumulate d0 lower and *= bpe into Cin addr
v_cndmask_b32 v226, -1, v226, s[58:59]             // LDD clip if OOB. offset
/* (d1,vc1,d0,vc0)=(3,2,2,0) */
s_mov_b32 s54, 128                                 // coordOffset0 d0=2 vc0=0
_v_add_co_u32 v4, vcc, v0, s54                     // coord0.2: coord0 += d0*sg0*VW + vc0
v_cmp_lt_u32 s[54:55], v4, s[sgprSizeI]            // coord0 < size0
v_cmp_lt_u32 s[58:59], v1, s[sgprSizeJ]            // coord1 < size1
s_and_b64 s[58:59], s[54:55], s[58:59]             // in0 && in1
_v_add_lshl_u32 v229, v3, v4, 0x1                  // scaleToBpe: accumulate d0 lower and *= bpe into Cin addr
v_cndmask_b32 v229, -1, v229, s[58:59]             // LDD clip if OOB. offset
/* (d1,vc1,d0,vc0)=(3,2,2,1) */
s_mov_b32 s54, 129                                 // coordOffset0 d0=2 vc0=1
_v_add_co_u32 v4, vcc, v0, s54                     // coord0.2: coord0 += d0*sg0*VW + vc0
	;; [unrolled: 8-line block ×8, first 2 shown]
v_cmp_lt_u32 s[54:55], v4, s[sgprSizeI]            // coord0 < size0
v_cmp_lt_u32 s[58:59], v1, s[sgprSizeJ]            // coord1 < size1
s_and_b64 s[58:59], s[54:55], s[58:59]             // in0 && in1
_v_add_lshl_u32 v250, v3, v4, 0x1                  // scaleToBpe: accumulate d0 lower and *= bpe into Cin addr
v_cndmask_b32 v250, -1, v250, s[58:59]             // LDD clip if OOB. offset
v_accvgpr_read_b32 v[vgprValuC+12], acc130 // copy acc to vreg[160]
v_accvgpr_read_b32 v[vgprValuC+15], acc134 // copy acc to vreg[161]
v_accvgpr_read_b32 v[vgprValuC+18], acc138 // copy acc to vreg[162]
v_accvgpr_read_b32 v[vgprValuC+21], acc142 // copy acc to vreg[163]
v_accvgpr_read_b32 v[vgprValuC+24], acc146 // copy acc to vreg[164]
v_accvgpr_read_b32 v[vgprValuC+27], acc150 // copy acc to vreg[165]
v_accvgpr_read_b32 v[vgprValuC+30], acc154 // copy acc to vreg[166]
v_accvgpr_read_b32 v[vgprValuC+33], acc158 // copy acc to vreg[167]
v_accvgpr_read_b32 v[vgprValuC+36], acc162 // copy acc to vreg[168]
v_accvgpr_read_b32 v[vgprValuC+39], acc166 // copy acc to vreg[169]
v_accvgpr_read_b32 v[vgprValuC+42], acc170 // copy acc to vreg[170]
v_accvgpr_read_b32 v[vgprValuC+45], acc174 // copy acc to vreg[171]
v_accvgpr_read_b32 v[vgprValuC+48], acc178 // copy acc to vreg[172]
v_accvgpr_read_b32 v[vgprValuC+51], acc182 // copy acc to vreg[173]
v_accvgpr_read_b32 v[vgprValuC+54], acc186 // copy acc to vreg[174]
v_accvgpr_read_b32 v[vgprValuC+57], acc190 // copy acc to vreg[175]
v_accvgpr_read_b32 v[vgprValuC+60], acc131 // copy acc to vreg[176]
v_accvgpr_read_b32 v[vgprValuC+63], acc135 // copy acc to vreg[177]
v_accvgpr_read_b32 v[vgprValuC+66], acc139 // copy acc to vreg[178]
v_accvgpr_read_b32 v[vgprValuC+69], acc143 // copy acc to vreg[179]
v_accvgpr_read_b32 v[vgprValuC+72], acc147 // copy acc to vreg[180]
v_accvgpr_read_b32 v[vgprValuC+75], acc151 // copy acc to vreg[181]
v_accvgpr_read_b32 v[vgprValuC+78], acc155 // copy acc to vreg[182]
v_accvgpr_read_b32 v[vgprValuC+81], acc159 // copy acc to vreg[183]
v_accvgpr_read_b32 v[vgprValuC+84], acc163 // copy acc to vreg[184]
v_accvgpr_read_b32 v[vgprValuC+87], acc167 // copy acc to vreg[185]
v_accvgpr_read_b32 v[vgprValuC+90], acc171 // copy acc to vreg[186]
v_accvgpr_read_b32 v[vgprValuC+93], acc175 // copy acc to vreg[187]
v_accvgpr_read_b32 v[vgprValuC+96], acc179 // copy acc to vreg[188]
v_accvgpr_read_b32 v[vgprValuC+99], acc183 // copy acc to vreg[189]
v_accvgpr_read_b32 v[vgprValuC+102], acc187 // copy acc to vreg[190]
v_accvgpr_read_b32 v[vgprValuC+105], acc191 // copy acc to vreg[191]
v_accvgpr_read_b32 v[vgprValuC+108], acc192 // copy acc to vreg[192]
v_accvgpr_read_b32 v[vgprValuC+111], acc196 // copy acc to vreg[193]
v_accvgpr_read_b32 v[vgprValuC+114], acc200 // copy acc to vreg[194]
v_accvgpr_read_b32 v[vgprValuC+120], acc204 // copy acc to vreg[195]
v_accvgpr_read_b32 v[vgprValuC+123], acc208 // copy acc to vreg[196]
v_accvgpr_read_b32 v[vgprValuC+126], acc212 // copy acc to vreg[197]
v_accvgpr_read_b32 v[vgprValuC+129], acc216 // copy acc to vreg[198]
v_accvgpr_read_b32 v[vgprValuC+132], acc220 // copy acc to vreg[199]
v_accvgpr_read_b32 v[vgprValuC+135], acc224 // copy acc to vreg[200]
v_accvgpr_read_b32 v[vgprValuC+138], acc228 // copy acc to vreg[201]
v_accvgpr_read_b32 v[vgprValuC+141], acc232 // copy acc to vreg[202]
v_accvgpr_read_b32 v[vgprValuC+144], acc236 // copy acc to vreg[203]
v_accvgpr_read_b32 v[vgprValuC+147], acc240 // copy acc to vreg[204]
v_accvgpr_read_b32 v[vgprValuC+150], acc244 // copy acc to vreg[205]
v_accvgpr_read_b32 v[vgprValuC+153], acc248 // copy acc to vreg[206]
v_accvgpr_read_b32 v[vgprValuC+156], acc252 // copy acc to vreg[207]
v_accvgpr_read_b32 v[vgprValuC+159], acc193 // copy acc to vreg[208]
v_accvgpr_read_b32 v[vgprValuC+162], acc197 // copy acc to vreg[209]
v_accvgpr_read_b32 v[vgprValuC+165], acc201 // copy acc to vreg[210]
v_accvgpr_read_b32 v[vgprValuC+168], acc205 // copy acc to vreg[211]
v_accvgpr_read_b32 v[vgprValuC+171], acc209 // copy acc to vreg[212]
v_accvgpr_read_b32 v[vgprValuC+174], acc213 // copy acc to vreg[213]
v_accvgpr_read_b32 v[vgprValuC+177], acc217 // copy acc to vreg[214]
v_accvgpr_read_b32 v[vgprValuC+180], acc221 // copy acc to vreg[215]
v_accvgpr_read_b32 v[vgprValuC+183], acc225 // copy acc to vreg[216]
v_accvgpr_read_b32 v[vgprValuC+186], acc229 // copy acc to vreg[217]
v_accvgpr_read_b32 v[vgprValuC+189], acc233 // copy acc to vreg[218]
v_accvgpr_read_b32 v[vgprValuC+192], acc237 // copy acc to vreg[219]
v_accvgpr_read_b32 v[vgprValuC+195], acc241 // copy acc to vreg[220]
v_accvgpr_read_b32 v[vgprValuC+198], acc245 // copy acc to vreg[221]
v_accvgpr_read_b32 v[vgprValuC+201], acc249 // copy acc to vreg[222]
v_accvgpr_read_b32 v[vgprValuC+204], acc253 // copy acc to vreg[223]
v_accvgpr_read_b32 v[vgprValuC+207], acc194 // copy acc to vreg[224]
v_accvgpr_read_b32 v[vgprValuC+210], acc198 // copy acc to vreg[225]
v_accvgpr_read_b32 v[vgprValuC+213], acc202 // copy acc to vreg[226]
v_accvgpr_read_b32 v[vgprValuC+216], acc206 // copy acc to vreg[227]
v_accvgpr_read_b32 v[vgprValuC+219], acc210 // copy acc to vreg[228]
v_accvgpr_read_b32 v[vgprValuC+222], acc214 // copy acc to vreg[229]
v_accvgpr_read_b32 v[vgprValuC+225], acc218 // copy acc to vreg[230]
v_accvgpr_read_b32 v[vgprValuC+228], acc222 // copy acc to vreg[231]
v_accvgpr_read_b32 v[vgprValuC+231], acc226 // copy acc to vreg[232]
v_accvgpr_read_b32 v[vgprValuC+234], acc230 // copy acc to vreg[233]
v_accvgpr_read_b32 v[vgprValuC+237], acc234 // copy acc to vreg[234]
v_accvgpr_read_b32 v[vgprValuC+240], acc238 // copy acc to vreg[235]
v_accvgpr_read_b32 v[vgprValuC+243], acc242 // copy acc to vreg[236]
v_accvgpr_read_b32 v[vgprValuC+246], acc246 // copy acc to vreg[237]
v_accvgpr_read_b32 v[vgprValuC+249], acc250 // copy acc to vreg[238]
v_accvgpr_read_b32 v[vgprValuC+252], acc254 // copy acc to vreg[239]
s_nop 1                                            // 2 wait states required before reading vgpr

/* rC *= alpha batchElements=[(2, 0, 2, 0), (2, 0, 2, 1), (2, 0, 2, 2), (2, 0, 2, 3), (2, 1, 2, 0), (2, 1, 2, 1), (2, 1, 2, 2), (2, 1, 2, 3), (2, 2, 2, 0), (2, 2, 2, 1), (2, 2, 2, 2), (2, 2, 2, 3), (2, 3, 2, 0), (2, 3, 2, 1), (2, 3, 2, 2), (2, 3, 2, 3), (2, 0, 3, 0), (2, 0, 3, 1), (2, 0, 3, 2), (2, 0, 3, 3), (2, 1, 3, 0), (2, 1, 3, 1), (2, 1, 3, 2), (2, 1, 3, 3), (2, 2, 3, 0), (2, 2, 3, 1), (2, 2, 3, 2), (2, 2, 3, 3), (2, 3, 3, 0), (2, 3, 3, 1), (2, 3, 3, 2), (2, 3, 3, 3), (3, 0, 0, 0), (3, 0, 0, 1), (3, 0, 0, 2), (3, 0, 0, 3), (3, 1, 0, 0), (3, 1, 0, 1), (3, 1, 0, 2), (3, 1, 0, 3), (3, 2, 0, 0), (3, 2, 0, 1), (3, 2, 0, 2), (3, 2, 0, 3), (3, 3, 0, 0), (3, 3, 0, 1), (3, 3, 0, 2), (3, 3, 0, 3), (3, 0, 1, 0), (3, 0, 1, 1), (3, 0, 1, 2), (3, 0, 1, 3), (3, 1, 1, 0), (3, 1, 1, 1), (3, 1, 1, 2), (3, 1, 1, 3), (3, 2, 1, 0), (3, 2, 1, 1), (3, 2, 1, 2), (3, 2, 1, 3), (3, 3, 1, 0), (3, 3, 1, 1), (3, 3, 1, 2), (3, 3, 1, 3), (3, 0, 2, 0), (3, 0, 2, 1), (3, 0, 2, 2), (3, 0, 2, 3), (3, 1, 2, 0), (3, 1, 2, 1), (3, 1, 2, 2), (3, 1, 2, 3), (3, 2, 2, 0), (3, 2, 2, 1), (3, 2, 2, 2), (3, 2, 2, 3), (3, 3, 2, 0), (3, 3, 2, 1), (3, 3, 2, 2), (3, 3, 2, 3)] */
v_mul_f32 v[vgprValuC+12], s[sgprAlpha], v[vgprValuC+12] // *= alpha
v_mul_f32 v[vgprValuC+15], s[sgprAlpha], v[vgprValuC+15] // *= alpha
	;; [unrolled: 1-line block ×80, first 2 shown]

/* apply mask, calc new C and issue writes */
v_mov_b32 v7, 0xffff0000                           // mask for pack two bfloat16 element to 32bit
v_mov_b32 v8, 0x7fff0000                           // fp32 Nan
v_mov_b32 v9, 0x7fff                               // rounding bias for bfloat16
v_cmp_u_f32 s[54:55], v[vgprValuC+12], v[vgprValuC+12] // check Nan
v_bfe_u32 v6, v[vgprValuC+12], 16, 1               // Non-Nan case: store lsb of bf16
v_add3_u32 v6, v[vgprValuC+12], v6, v9             // Non-Nan case: add lsb and the increment for rounding
v_cndmask_b32 v[vgprValuC+12], v6, v8, s[54:55]    // 
v_lshrrev_b32 v[vgprValuC+12], 16, v[vgprValuC+12] // convert C to bf16
v_cmp_u_f32 s[54:55], v[vgprValuC+15], v[vgprValuC+15] // check Nan
v_bfe_u32 v6, v[vgprValuC+15], 16, 1               // Non-Nan case: store lsb of bf16
v_add3_u32 v6, v[vgprValuC+15], v6, v9             // Non-Nan case: add lsb and the increment for rounding
v_cndmask_b32 v[vgprValuC+15], v6, v8, s[54:55]    // 
v_lshrrev_b32 v[vgprValuC+15], 16, v[vgprValuC+15] // convert C to bf16
	;; [unrolled: 5-line block ×30, first 2 shown]
v_cmp_u_f32 s[54:55], v[vgprValuC+102], v[vgprValuC+102] // check Nan
v_bfe_u32 v6, v[vgprValuC+102], 16, 1              // Non-Nan case: store lsb of bf16
v_add3_u32 v6, v[vgprValuC+102], v6, v9            // Non-Nan case: add lsb and the increment for rounding
v_cndmask_b32 v[vgprValuC+102], v6, v8, s[54:55]   // 
v_lshrrev_b32 v[vgprValuC+102], 16, v[vgprValuC+102] // convert C to bf16
v_cmp_u_f32 s[54:55], v[vgprValuC+105], v[vgprValuC+105] // check Nan
v_bfe_u32 v6, v[vgprValuC+105], 16, 1              // Non-Nan case: store lsb of bf16
v_add3_u32 v6, v[vgprValuC+105], v6, v9            // Non-Nan case: add lsb and the increment for rounding
v_cndmask_b32 v[vgprValuC+105], v6, v8, s[54:55]   // 
v_lshrrev_b32 v[vgprValuC+105], 16, v[vgprValuC+105] // convert C to bf16
	;; [unrolled: 5-line block ×50, first 2 shown]
_buffer_store_b16 v12, v10, s[sgprSrdD:sgprSrdD+3], 0, offen, offset:0,  sc0 sc1 // store D
_buffer_store_b16 v15, v13, s[sgprSrdD:sgprSrdD+3], 0, offen, offset:0,  sc0 sc1 // store D
_buffer_store_b16 v18, v16, s[sgprSrdD:sgprSrdD+3], 0, offen, offset:0,  sc0 sc1 // store D
_buffer_store_b16 v21, v19, s[sgprSrdD:sgprSrdD+3], 0, offen, offset:0,  sc0 sc1 // store D
_buffer_store_b16 v24, v22, s[sgprSrdD:sgprSrdD+3], 0, offen, offset:0,  sc0 sc1 // store D
_buffer_store_b16 v27, v25, s[sgprSrdD:sgprSrdD+3], 0, offen, offset:0,  sc0 sc1 // store D
_buffer_store_b16 v30, v28, s[sgprSrdD:sgprSrdD+3], 0, offen, offset:0,  sc0 sc1 // store D
_buffer_store_b16 v33, v31, s[sgprSrdD:sgprSrdD+3], 0, offen, offset:0,  sc0 sc1 // store D
_buffer_store_b16 v36, v34, s[sgprSrdD:sgprSrdD+3], 0, offen, offset:0,  sc0 sc1 // store D
_buffer_store_b16 v39, v37, s[sgprSrdD:sgprSrdD+3], 0, offen, offset:0,  sc0 sc1 // store D
_buffer_store_b16 v42, v40, s[sgprSrdD:sgprSrdD+3], 0, offen, offset:0,  sc0 sc1 // store D
_buffer_store_b16 v45, v43, s[sgprSrdD:sgprSrdD+3], 0, offen, offset:0,  sc0 sc1 // store D
_buffer_store_b16 v48, v46, s[sgprSrdD:sgprSrdD+3], 0, offen, offset:0,  sc0 sc1 // store D
_buffer_store_b16 v51, v49, s[sgprSrdD:sgprSrdD+3], 0, offen, offset:0,  sc0 sc1 // store D
_buffer_store_b16 v54, v52, s[sgprSrdD:sgprSrdD+3], 0, offen, offset:0,  sc0 sc1 // store D
_buffer_store_b16 v57, v55, s[sgprSrdD:sgprSrdD+3], 0, offen, offset:0,  sc0 sc1 // store D
_buffer_store_b16 v60, v58, s[sgprSrdD:sgprSrdD+3], 0, offen, offset:0,  sc0 sc1 // store D
_buffer_store_b16 v63, v61, s[sgprSrdD:sgprSrdD+3], 0, offen, offset:0,  sc0 sc1 // store D
_buffer_store_b16 v66, v64, s[sgprSrdD:sgprSrdD+3], 0, offen, offset:0,  sc0 sc1 // store D
_buffer_store_b16 v69, v67, s[sgprSrdD:sgprSrdD+3], 0, offen, offset:0,  sc0 sc1 // store D
_buffer_store_b16 v72, v70, s[sgprSrdD:sgprSrdD+3], 0, offen, offset:0,  sc0 sc1 // store D
_buffer_store_b16 v75, v73, s[sgprSrdD:sgprSrdD+3], 0, offen, offset:0,  sc0 sc1 // store D
_buffer_store_b16 v78, v76, s[sgprSrdD:sgprSrdD+3], 0, offen, offset:0,  sc0 sc1 // store D
_buffer_store_b16 v81, v79, s[sgprSrdD:sgprSrdD+3], 0, offen, offset:0,  sc0 sc1 // store D
_buffer_store_b16 v84, v82, s[sgprSrdD:sgprSrdD+3], 0, offen, offset:0,  sc0 sc1 // store D
_buffer_store_b16 v87, v85, s[sgprSrdD:sgprSrdD+3], 0, offen, offset:0,  sc0 sc1 // store D
_buffer_store_b16 v90, v88, s[sgprSrdD:sgprSrdD+3], 0, offen, offset:0,  sc0 sc1 // store D
_buffer_store_b16 v93, v91, s[sgprSrdD:sgprSrdD+3], 0, offen, offset:0,  sc0 sc1 // store D
_buffer_store_b16 v96, v94, s[sgprSrdD:sgprSrdD+3], 0, offen, offset:0,  sc0 sc1 // store D
_buffer_store_b16 v99, v97, s[sgprSrdD:sgprSrdD+3], 0, offen, offset:0,  sc0 sc1 // store D
_buffer_store_b16 v102, v100, s[sgprSrdD:sgprSrdD+3], 0, offen, offset:0,  sc0 sc1 // store D
_buffer_store_b16 v105, v103, s[sgprSrdD:sgprSrdD+3], 0, offen, offset:0,  sc0 sc1 // store D
_buffer_store_b16 v108, v106, s[sgprSrdD:sgprSrdD+3], 0, offen, offset:0,  sc0 sc1 // store D
_buffer_store_b16 v111, v109, s[sgprSrdD:sgprSrdD+3], 0, offen, offset:0,  sc0 sc1 // store D
_buffer_store_b16 v114, v112, s[sgprSrdD:sgprSrdD+3], 0, offen, offset:0,  sc0 sc1 // store D
_buffer_store_b16 v120, v115, s[sgprSrdD:sgprSrdD+3], 0, offen, offset:0,  sc0 sc1 // store D
_buffer_store_b16 v123, v121, s[sgprSrdD:sgprSrdD+3], 0, offen, offset:0,  sc0 sc1 // store D
_buffer_store_b16 v126, v124, s[sgprSrdD:sgprSrdD+3], 0, offen, offset:0,  sc0 sc1 // store D
_buffer_store_b16 v129, v127, s[sgprSrdD:sgprSrdD+3], 0, offen, offset:0,  sc0 sc1 // store D
_buffer_store_b16 v132, v130, s[sgprSrdD:sgprSrdD+3], 0, offen, offset:0,  sc0 sc1 // store D
_buffer_store_b16 v135, v133, s[sgprSrdD:sgprSrdD+3], 0, offen, offset:0,  sc0 sc1 // store D
_buffer_store_b16 v138, v136, s[sgprSrdD:sgprSrdD+3], 0, offen, offset:0,  sc0 sc1 // store D
_buffer_store_b16 v141, v139, s[sgprSrdD:sgprSrdD+3], 0, offen, offset:0,  sc0 sc1 // store D
_buffer_store_b16 v144, v142, s[sgprSrdD:sgprSrdD+3], 0, offen, offset:0,  sc0 sc1 // store D
_buffer_store_b16 v147, v145, s[sgprSrdD:sgprSrdD+3], 0, offen, offset:0,  sc0 sc1 // store D
_buffer_store_b16 v150, v148, s[sgprSrdD:sgprSrdD+3], 0, offen, offset:0,  sc0 sc1 // store D
_buffer_store_b16 v153, v151, s[sgprSrdD:sgprSrdD+3], 0, offen, offset:0,  sc0 sc1 // store D
_buffer_store_b16 v156, v154, s[sgprSrdD:sgprSrdD+3], 0, offen, offset:0,  sc0 sc1 // store D
_buffer_store_b16 v159, v157, s[sgprSrdD:sgprSrdD+3], 0, offen, offset:0,  sc0 sc1 // store D
_buffer_store_b16 v162, v160, s[sgprSrdD:sgprSrdD+3], 0, offen, offset:0,  sc0 sc1 // store D
_buffer_store_b16 v165, v163, s[sgprSrdD:sgprSrdD+3], 0, offen, offset:0,  sc0 sc1 // store D
_buffer_store_b16 v168, v166, s[sgprSrdD:sgprSrdD+3], 0, offen, offset:0,  sc0 sc1 // store D
_buffer_store_b16 v171, v169, s[sgprSrdD:sgprSrdD+3], 0, offen, offset:0,  sc0 sc1 // store D
_buffer_store_b16 v174, v172, s[sgprSrdD:sgprSrdD+3], 0, offen, offset:0,  sc0 sc1 // store D
_buffer_store_b16 v177, v175, s[sgprSrdD:sgprSrdD+3], 0, offen, offset:0,  sc0 sc1 // store D
_buffer_store_b16 v180, v178, s[sgprSrdD:sgprSrdD+3], 0, offen, offset:0,  sc0 sc1 // store D
_buffer_store_b16 v183, v181, s[sgprSrdD:sgprSrdD+3], 0, offen, offset:0,  sc0 sc1 // store D
_buffer_store_b16 v186, v184, s[sgprSrdD:sgprSrdD+3], 0, offen, offset:0,  sc0 sc1 // store D
_buffer_store_b16 v189, v187, s[sgprSrdD:sgprSrdD+3], 0, offen, offset:0,  sc0 sc1 // store D
_buffer_store_b16 v192, v190, s[sgprSrdD:sgprSrdD+3], 0, offen, offset:0,  sc0 sc1 // store D
_buffer_store_b16 v195, v193, s[sgprSrdD:sgprSrdD+3], 0, offen, offset:0,  sc0 sc1 // store D
_buffer_store_b16 v198, v196, s[sgprSrdD:sgprSrdD+3], 0, offen, offset:0,  sc0 sc1 // store D
_buffer_store_b16 v201, v199, s[sgprSrdD:sgprSrdD+3], 0, offen, offset:0,  sc0 sc1 // store D
_buffer_store_b16 v204, v202, s[sgprSrdD:sgprSrdD+3], 0, offen, offset:0,  sc0 sc1 // store D
_buffer_store_b16 v207, v205, s[sgprSrdD:sgprSrdD+3], 0, offen, offset:0,  sc0 sc1 // store D
_buffer_store_b16 v210, v208, s[sgprSrdD:sgprSrdD+3], 0, offen, offset:0,  sc0 sc1 // store D
_buffer_store_b16 v213, v211, s[sgprSrdD:sgprSrdD+3], 0, offen, offset:0,  sc0 sc1 // store D
_buffer_store_b16 v216, v214, s[sgprSrdD:sgprSrdD+3], 0, offen, offset:0,  sc0 sc1 // store D
_buffer_store_b16 v219, v217, s[sgprSrdD:sgprSrdD+3], 0, offen, offset:0,  sc0 sc1 // store D
_buffer_store_b16 v222, v220, s[sgprSrdD:sgprSrdD+3], 0, offen, offset:0,  sc0 sc1 // store D
_buffer_store_b16 v225, v223, s[sgprSrdD:sgprSrdD+3], 0, offen, offset:0,  sc0 sc1 // store D
_buffer_store_b16 v228, v226, s[sgprSrdD:sgprSrdD+3], 0, offen, offset:0,  sc0 sc1 // store D
_buffer_store_b16 v231, v229, s[sgprSrdD:sgprSrdD+3], 0, offen, offset:0,  sc0 sc1 // store D
_buffer_store_b16 v234, v232, s[sgprSrdD:sgprSrdD+3], 0, offen, offset:0,  sc0 sc1 // store D
_buffer_store_b16 v237, v235, s[sgprSrdD:sgprSrdD+3], 0, offen, offset:0,  sc0 sc1 // store D
_buffer_store_b16 v240, v238, s[sgprSrdD:sgprSrdD+3], 0, offen, offset:0,  sc0 sc1 // store D
_buffer_store_b16 v243, v241, s[sgprSrdD:sgprSrdD+3], 0, offen, offset:0,  sc0 sc1 // store D
_buffer_store_b16 v246, v244, s[sgprSrdD:sgprSrdD+3], 0, offen, offset:0,  sc0 sc1 // store D
_buffer_store_b16 v249, v247, s[sgprSrdD:sgprSrdD+3], 0, offen, offset:0,  sc0 sc1 // store D
_buffer_store_b16 v252, v250, s[sgprSrdD:sgprSrdD+3], 0, offen, offset:0,  sc0 sc1 // store D
s_nop 0                                            // 1 wait state required when next inst writes vgprs held by previous dwordx4 store inst
/* optSingleColVgpr=0 optSharedColVgpr=0 optSGPRUsage=BufferLoad_Edge_Mask optSrdIncForRow=0 */
s_sleep 5 // optimization: sync and wait
s_barrier

/******************************************/
/* Global Write Alpha Edge Batch #3 (d1,d0,vc1,vc0) = */
/*    (3,0,3,0:vw1); (3,0,3,1:vw1); (3,0,3,2:vw1); (3,0,3,3:vw1); (3,1,3,0:vw1); (3,1,3,1:vw1); (3,1,3,2:vw1); (3,1,3,3:vw1); (3,2,3,0:vw1); (3,2,3,1:vw1); (3,2,3,2:vw1); (3,2,3,3:vw1); (3,3,3,0:vw1); (3,3,3,1:vw1); (3,3,3,2:vw1); (3,3,3,3:vw1) */
/******************************************/

/* calc coords, apply mask, and issue loads (if necessary) */
/* (d1,vc1,d0,vc0)=(3,3,0,0) */
_v_add_co_u32 v1, vcc, v1, 1                       // coord1.1: coord1Vgpr += d1*sg1*VW + vc1

/* Fix for UseInitialStridesCD, emitAddressSetupCode */
_v_add_u32 v2, v2, s[sgprStrideC1J]                // ROWINC- Move cinRowPtr to next row
_v_add_u32 v3, v3, s[sgprStrideD1J]                // Move coutRowPtr to next row
v_cmp_lt_u32 s[54:55], v0, s[sgprSizeI]            // coord0 < size0
v_cmp_lt_u32 s[58:59], v1, s[sgprSizeJ]            // coord1 < size1
s_and_b64 s[58:59], s[54:55], s[58:59]             // in0 && in1
_v_add_lshl_u32 v10, v3, v0, 0x1                   // scaleToBpe: accumulate d0 lower and *= bpe into Cin addr
v_cndmask_b32 v10, -1, v10, s[58:59]               // LDD clip if OOB. offset
/* (d1,vc1,d0,vc0)=(3,3,0,1) */
_v_add_co_u32 v4, vcc, v0, 1                       // coord0.1: coord0 += d0*sg0*VW + vc0
v_cmp_lt_u32 s[54:55], v4, s[sgprSizeI]            // coord0 < size0
v_cmp_lt_u32 s[58:59], v1, s[sgprSizeJ]            // coord1 < size1
s_and_b64 s[58:59], s[54:55], s[58:59]             // in0 && in1
_v_add_lshl_u32 v13, v3, v4, 0x1                   // scaleToBpe: accumulate d0 lower and *= bpe into Cin addr
v_cndmask_b32 v13, -1, v13, s[58:59]               // LDD clip if OOB. offset
/* (d1,vc1,d0,vc0)=(3,3,0,2) */
_v_add_co_u32 v4, vcc, v0, 2                       // coord0.1: coord0 += d0*sg0*VW + vc0
	;; [unrolled: 7-line block ×3, first 2 shown]
v_cmp_lt_u32 s[54:55], v4, s[sgprSizeI]            // coord0 < size0
v_cmp_lt_u32 s[58:59], v1, s[sgprSizeJ]            // coord1 < size1
s_and_b64 s[58:59], s[54:55], s[58:59]             // in0 && in1
_v_add_lshl_u32 v19, v3, v4, 0x1                   // scaleToBpe: accumulate d0 lower and *= bpe into Cin addr
v_cndmask_b32 v19, -1, v19, s[58:59]               // LDD clip if OOB. offset
/* (d1,vc1,d0,vc0)=(3,3,1,0) */
_v_add_co_u32 v4, vcc, v0, 64                      // coord0.1: coord0 += d0*sg0*VW + vc0
v_cmp_lt_u32 s[54:55], v4, s[sgprSizeI]            // coord0 < size0
v_cmp_lt_u32 s[58:59], v1, s[sgprSizeJ]            // coord1 < size1
s_and_b64 s[58:59], s[54:55], s[58:59]             // in0 && in1
_v_add_lshl_u32 v22, v3, v4, 0x1                   // scaleToBpe: accumulate d0 lower and *= bpe into Cin addr
v_cndmask_b32 v22, -1, v22, s[58:59]               // LDD clip if OOB. offset
/* (d1,vc1,d0,vc0)=(3,3,1,1) */
s_mov_b32 s54, 65                                  // coordOffset0 d0=1 vc0=1
_v_add_co_u32 v4, vcc, v0, s54                     // coord0.2: coord0 += d0*sg0*VW + vc0
v_cmp_lt_u32 s[54:55], v4, s[sgprSizeI]            // coord0 < size0
v_cmp_lt_u32 s[58:59], v1, s[sgprSizeJ]            // coord1 < size1
s_and_b64 s[58:59], s[54:55], s[58:59]             // in0 && in1
_v_add_lshl_u32 v25, v3, v4, 0x1                   // scaleToBpe: accumulate d0 lower and *= bpe into Cin addr
v_cndmask_b32 v25, -1, v25, s[58:59]               // LDD clip if OOB. offset
/* (d1,vc1,d0,vc0)=(3,3,1,2) */
s_mov_b32 s54, 66                                  // coordOffset0 d0=1 vc0=2
_v_add_co_u32 v4, vcc, v0, s54                     // coord0.2: coord0 += d0*sg0*VW + vc0
	;; [unrolled: 8-line block ×3, first 2 shown]
v_cmp_lt_u32 s[54:55], v4, s[sgprSizeI]            // coord0 < size0
v_cmp_lt_u32 s[58:59], v1, s[sgprSizeJ]            // coord1 < size1
s_and_b64 s[58:59], s[54:55], s[58:59]             // in0 && in1
_v_add_lshl_u32 v31, v3, v4, 0x1                   // scaleToBpe: accumulate d0 lower and *= bpe into Cin addr
v_cndmask_b32 v31, -1, v31, s[58:59]               // LDD clip if OOB. offset
/* (d1,vc1,d0,vc0)=(3,3,2,0) */
s_mov_b32 s54, 128                                 // coordOffset0 d0=2 vc0=0
_v_add_co_u32 v4, vcc, v0, s54                     // coord0.2: coord0 += d0*sg0*VW + vc0
v_cmp_lt_u32 s[54:55], v4, s[sgprSizeI]            // coord0 < size0
v_cmp_lt_u32 s[58:59], v1, s[sgprSizeJ]            // coord1 < size1
s_and_b64 s[58:59], s[54:55], s[58:59]             // in0 && in1
_v_add_lshl_u32 v34, v3, v4, 0x1                   // scaleToBpe: accumulate d0 lower and *= bpe into Cin addr
v_cndmask_b32 v34, -1, v34, s[58:59]               // LDD clip if OOB. offset
/* (d1,vc1,d0,vc0)=(3,3,2,1) */
s_mov_b32 s54, 129                                 // coordOffset0 d0=2 vc0=1
_v_add_co_u32 v4, vcc, v0, s54                     // coord0.2: coord0 += d0*sg0*VW + vc0
	;; [unrolled: 8-line block ×8, first 2 shown]
v_cmp_lt_u32 s[54:55], v4, s[sgprSizeI]            // coord0 < size0
v_cmp_lt_u32 s[58:59], v1, s[sgprSizeJ]            // coord1 < size1
s_and_b64 s[58:59], s[54:55], s[58:59]             // in0 && in1
_v_add_lshl_u32 v55, v3, v4, 0x1                   // scaleToBpe: accumulate d0 lower and *= bpe into Cin addr
v_cndmask_b32 v55, -1, v55, s[58:59]               // LDD clip if OOB. offset
v_accvgpr_read_b32 v[vgprValuC+12], acc195 // copy acc to vreg[240]
v_accvgpr_read_b32 v[vgprValuC+15], acc199 // copy acc to vreg[241]
v_accvgpr_read_b32 v[vgprValuC+18], acc203 // copy acc to vreg[242]
v_accvgpr_read_b32 v[vgprValuC+21], acc207 // copy acc to vreg[243]
v_accvgpr_read_b32 v[vgprValuC+24], acc211 // copy acc to vreg[244]
v_accvgpr_read_b32 v[vgprValuC+27], acc215 // copy acc to vreg[245]
v_accvgpr_read_b32 v[vgprValuC+30], acc219 // copy acc to vreg[246]
v_accvgpr_read_b32 v[vgprValuC+33], acc223 // copy acc to vreg[247]
v_accvgpr_read_b32 v[vgprValuC+36], acc227 // copy acc to vreg[248]
v_accvgpr_read_b32 v[vgprValuC+39], acc231 // copy acc to vreg[249]
v_accvgpr_read_b32 v[vgprValuC+42], acc235 // copy acc to vreg[250]
v_accvgpr_read_b32 v[vgprValuC+45], acc239 // copy acc to vreg[251]
v_accvgpr_read_b32 v[vgprValuC+48], acc243 // copy acc to vreg[252]
v_accvgpr_read_b32 v[vgprValuC+51], acc247 // copy acc to vreg[253]
v_accvgpr_read_b32 v[vgprValuC+54], acc251 // copy acc to vreg[254]
v_accvgpr_read_b32 v[vgprValuC+57], acc255 // copy acc to vreg[255]
s_nop 1                                            // 2 wait states required before reading vgpr

/* rC *= alpha batchElements=[(3, 0, 3, 0), (3, 0, 3, 1), (3, 0, 3, 2), (3, 0, 3, 3), (3, 1, 3, 0), (3, 1, 3, 1), (3, 1, 3, 2), (3, 1, 3, 3), (3, 2, 3, 0), (3, 2, 3, 1), (3, 2, 3, 2), (3, 2, 3, 3), (3, 3, 3, 0), (3, 3, 3, 1), (3, 3, 3, 2), (3, 3, 3, 3)] */
v_mul_f32 v[vgprValuC+12], s[sgprAlpha], v[vgprValuC+12] // *= alpha
v_mul_f32 v[vgprValuC+15], s[sgprAlpha], v[vgprValuC+15] // *= alpha
	;; [unrolled: 1-line block ×16, first 2 shown]

/* apply mask, calc new C and issue writes */
v_mov_b32 v7, 0xffff0000                           // mask for pack two bfloat16 element to 32bit
v_mov_b32 v8, 0x7fff0000                           // fp32 Nan
v_mov_b32 v9, 0x7fff                               // rounding bias for bfloat16
v_cmp_u_f32 s[54:55], v[vgprValuC+12], v[vgprValuC+12] // check Nan
v_bfe_u32 v6, v[vgprValuC+12], 16, 1               // Non-Nan case: store lsb of bf16
v_add3_u32 v6, v[vgprValuC+12], v6, v9             // Non-Nan case: add lsb and the increment for rounding
v_cndmask_b32 v[vgprValuC+12], v6, v8, s[54:55]    // 
v_lshrrev_b32 v[vgprValuC+12], 16, v[vgprValuC+12] // convert C to bf16
v_cmp_u_f32 s[54:55], v[vgprValuC+15], v[vgprValuC+15] // check Nan
v_bfe_u32 v6, v[vgprValuC+15], 16, 1               // Non-Nan case: store lsb of bf16
v_add3_u32 v6, v[vgprValuC+15], v6, v9             // Non-Nan case: add lsb and the increment for rounding
v_cndmask_b32 v[vgprValuC+15], v6, v8, s[54:55]    // 
v_lshrrev_b32 v[vgprValuC+15], 16, v[vgprValuC+15] // convert C to bf16
	;; [unrolled: 5-line block ×16, first 2 shown]
_buffer_store_b16 v12, v10, s[sgprSrdD:sgprSrdD+3], 0, offen, offset:0,  sc0 sc1 // store D
_buffer_store_b16 v15, v13, s[sgprSrdD:sgprSrdD+3], 0, offen, offset:0,  sc0 sc1 // store D
	;; [unrolled: 1-line block ×16, first 2 shown]
s_nop 0                                            // 1 wait state required when next inst writes vgprs held by previous dwordx4 store inst
s_branch label_GW_End_44                           // jump to end
GW_Beta_45:
s_and_b32 s54, 255, s[sgprSizeI]                   // s54 = s[sgprSizeI] % 256
s_add_u32 s55, -0x1, s[sgprNumWorkGroups0]         // 
s_cmp_ge_u32 s[sgprWorkGroup0], s55                // wg0 >= nwg0-1 ?
s_cselect_b32 s54, s54, 0                          // set rMT0
s_cmpk_gt_u32 s54, 0x0                             // rMT0 > 0
s_cbranch_scc1 GW_B1_E1_43                         // jump if edges required
s_and_b32 s54, 255, s[sgprSizeJ]                   // s54 = s[sgprSizeJ] % 256
s_add_u32 s55, -0x1, s[sgprNumWorkGroups1]         // 
s_cmp_ge_u32 s[sgprWorkGroup1], s55                // wg1 >= nwg1-1
s_cselect_b32 s54, s54, 0                          // set rMT1
s_cmpk_gt_u32 s54, 0x0                             // rMT1 > 0
s_cbranch_scc1 GW_B1_E1_43                         // jump if edges required
GW_B1_E0_40:

/* edge=0, allocate 2 sgpr. perBatchTmpS=2 perBatchMaskS=0 perElementMaskS=0 elementsPerBatch=38 */
/* optSingleColVgpr=1 optSharedColVgpr=0 optSGPRUsage=BufferLoad_Mask optSrdIncForRow=1 */
s_sleep 5 // optimization: sync and wait
s_barrier

/******************************************/
/* Global Write Alpha Beta Batch #0 (d1,d0,vc1,vc0) = */
/*    (0,0,0,0:vw4); (0,1,0,0:vw4); (0,2,0,0:vw4); (0,3,0,0:vw4); (0,0,1,0:vw4); (0,1,1,0:vw4); (0,2,1,0:vw4); (0,3,1,0:vw4); (0,0,2,0:vw4); (0,1,2,0:vw4); (0,2,2,0:vw4); (0,3,2,0:vw4); (0,0,3,0:vw4); (0,1,3,0:vw4); (0,2,3,0:vw4); (0,3,3,0:vw4); (1,0,0,0:vw4); (1,1,0,0:vw4); (1,2,0,0:vw4); (1,3,0,0:vw4); (1,0,1,0:vw4); (1,1,1,0:vw4); (1,2,1,0:vw4); (1,3,1,0:vw4); (1,0,2,0:vw4); (1,1,2,0:vw4); (1,2,2,0:vw4); (1,3,2,0:vw4); (1,0,3,0:vw4); (1,1,3,0:vw4); (1,2,3,0:vw4); (1,3,3,0:vw4); (2,0,0,0:vw4); (2,1,0,0:vw4); (2,2,0,0:vw4); (2,3,0,0:vw4); (2,0,1,0:vw4); (2,1,1,0:vw4) */
/******************************************/

/* calc coords, apply mask, and issue loads (if necessary) */
/* (d1,vc1,d0,vc0)=(0,0,0,0) */
_v_add_lshl_u32 v11, v2, v0, 0x1                   // optSingleColVgpr scaleToBpe: sharedAddrVgpr <- cinRowPtr + coord0, scaled by BPE. BSHERE:coord0=0, coord0Vgpr=0
/* (d1,vc1,d0,vc0)=(0,0,1,0) */
/* (d1,vc1,d0,vc0)=(0,0,2,0) */
	;; [unrolled: 1-line block ×37, first 2 shown]
_v_add_lshl_u32 v10, v3, v0, 0x1                   // optSingleColVgpr scaleToBpe: sharedAddrVgpr <- cinRowPtr + coord0, scaled by BPE. BSHERE:coord0=0, coord0Vgpr=0
_buffer_load_b64 v[12:13], v11, s[sgprSrdC:sgprSrdC+3], 0, offen offset:0,  sc0 sc1 // load C for beta calc
_buffer_load_b64 v[14:15], v11, s[sgprSrdC:sgprSrdC+3], 0, offen offset:128,  sc0 sc1 // load C for beta calc
_buffer_load_b64 v[24:25], v11, s[sgprSrdC:sgprSrdC+3], 0, offen offset:256,  sc0 sc1 // load C for beta calc
_buffer_load_b64 v[26:27], v11, s[sgprSrdC:sgprSrdC+3], 0, offen offset:384,  sc0 sc1 // load C for beta calc
s_lshl_b32  s54, s[sgprStrideC1J], 1               // incToNextRow: Scale by BPE
s_add_u32  s[sgprSrdC+0], s[sgprSrdC+0], s54       // incToNextRow: gra SRD += inc(lower)
s_addc_u32  s[sgprSrdC+1], s[sgprSrdC+1], 0        // incToNextRow: gra SRD += inc(upper)
_buffer_load_b64 v[36:37], v11, s[sgprSrdC:sgprSrdC+3], 0, offen offset:0,  sc0 sc1 // load C for beta calc
_buffer_load_b64 v[38:39], v11, s[sgprSrdC:sgprSrdC+3], 0, offen offset:128,  sc0 sc1 // load C for beta calc
_buffer_load_b64 v[48:49], v11, s[sgprSrdC:sgprSrdC+3], 0, offen offset:256,  sc0 sc1 // load C for beta calc
_buffer_load_b64 v[50:51], v11, s[sgprSrdC:sgprSrdC+3], 0, offen offset:384,  sc0 sc1 // load C for beta calc
s_lshl_b32  s54, s[sgprStrideC1J], 1               // incToNextRow: Scale by BPE
s_add_u32  s[sgprSrdC+0], s[sgprSrdC+0], s54       // incToNextRow: gra SRD += inc(lower)
s_addc_u32  s[sgprSrdC+1], s[sgprSrdC+1], 0        // incToNextRow: gra SRD += inc(upper)
	;; [unrolled: 7-line block ×3, first 2 shown]
_buffer_load_b64 v[84:85], v11, s[sgprSrdC:sgprSrdC+3], 0, offen offset:0,  sc0 sc1 // load C for beta calc
_buffer_load_b64 v[86:87], v11, s[sgprSrdC:sgprSrdC+3], 0, offen offset:128,  sc0 sc1 // load C for beta calc
	;; [unrolled: 1-line block ×4, first 2 shown]
s_mul_i32 s54, s[sgprStrideC1J], 122               // scale StrideC *= numRows(61) * bpe
s_add_u32  s[sgprSrdC+0], s[sgprSrdC+0], s54       // incToNextRow: gra SRD += inc(lower)
s_addc_u32  s[sgprSrdC+1], s[sgprSrdC+1], 0        // incToNextRow: gra SRD += inc(upper)
_buffer_load_b64 v[108:109], v11, s[sgprSrdC:sgprSrdC+3], 0, offen offset:0,  sc0 sc1 // load C for beta calc
_buffer_load_b64 v[110:111], v11, s[sgprSrdC:sgprSrdC+3], 0, offen offset:128,  sc0 sc1 // load C for beta calc
_buffer_load_b64 v[124:125], v11, s[sgprSrdC:sgprSrdC+3], 0, offen offset:256,  sc0 sc1 // load C for beta calc
_buffer_load_b64 v[126:127], v11, s[sgprSrdC:sgprSrdC+3], 0, offen offset:384,  sc0 sc1 // load C for beta calc
s_lshl_b32  s54, s[sgprStrideC1J], 1               // incToNextRow: Scale by BPE
s_add_u32  s[sgprSrdC+0], s[sgprSrdC+0], s54       // incToNextRow: gra SRD += inc(lower)
s_addc_u32  s[sgprSrdC+1], s[sgprSrdC+1], 0        // incToNextRow: gra SRD += inc(upper)
_buffer_load_b64 v[136:137], v11, s[sgprSrdC:sgprSrdC+3], 0, offen offset:0,  sc0 sc1 // load C for beta calc
_buffer_load_b64 v[138:139], v11, s[sgprSrdC:sgprSrdC+3], 0, offen offset:128,  sc0 sc1 // load C for beta calc
_buffer_load_b64 v[148:149], v11, s[sgprSrdC:sgprSrdC+3], 0, offen offset:256,  sc0 sc1 // load C for beta calc
_buffer_load_b64 v[150:151], v11, s[sgprSrdC:sgprSrdC+3], 0, offen offset:384,  sc0 sc1 // load C for beta calc
s_lshl_b32  s54, s[sgprStrideC1J], 1               // incToNextRow: Scale by BPE
	;; [unrolled: 7-line block ×3, first 2 shown]
s_add_u32  s[sgprSrdC+0], s[sgprSrdC+0], s54       // incToNextRow: gra SRD += inc(lower)
s_addc_u32  s[sgprSrdC+1], s[sgprSrdC+1], 0        // incToNextRow: gra SRD += inc(upper)
_buffer_load_b64 v[184:185], v11, s[sgprSrdC:sgprSrdC+3], 0, offen offset:0,  sc0 sc1 // load C for beta calc
_buffer_load_b64 v[186:187], v11, s[sgprSrdC:sgprSrdC+3], 0, offen offset:128,  sc0 sc1 // load C for beta calc
	;; [unrolled: 1-line block ×4, first 2 shown]
s_mul_i32 s54, s[sgprStrideC1J], 122               // scale StrideC *= numRows(61) * bpe
s_add_u32  s[sgprSrdC+0], s[sgprSrdC+0], s54       // incToNextRow: gra SRD += inc(lower)
s_addc_u32  s[sgprSrdC+1], s[sgprSrdC+1], 0        // incToNextRow: gra SRD += inc(upper)
_buffer_load_b64 v[208:209], v11, s[sgprSrdC:sgprSrdC+3], 0, offen offset:0,  sc0 sc1 // load C for beta calc
_buffer_load_b64 v[210:211], v11, s[sgprSrdC:sgprSrdC+3], 0, offen offset:128,  sc0 sc1 // load C for beta calc
	;; [unrolled: 1-line block ×4, first 2 shown]
s_lshl_b32  s54, s[sgprStrideC1J], 1               // incToNextRow: Scale by BPE
s_add_u32  s[sgprSrdC+0], s[sgprSrdC+0], s54       // incToNextRow: gra SRD += inc(lower)
s_addc_u32  s[sgprSrdC+1], s[sgprSrdC+1], 0        // incToNextRow: gra SRD += inc(upper)
_buffer_load_b64 v[232:233], v11, s[sgprSrdC:sgprSrdC+3], 0, offen offset:0,  sc0 sc1 // load C for beta calc
_buffer_load_b64 v[234:235], v11, s[sgprSrdC:sgprSrdC+3], 0, offen offset:128,  sc0 sc1 // load C for beta calc
s_sleep 5 // optimization: sync and wait
s_barrier
v_accvgpr_read_b32 v[vgprValuC+16], acc0 // copy acc to vreg[0]
v_accvgpr_read_b32 v[vgprValuC+17], acc4 // copy acc to vreg[1]
v_accvgpr_read_b32 v[vgprValuC+18], acc8 // copy acc to vreg[2]
v_accvgpr_read_b32 v[vgprValuC+19], acc12 // copy acc to vreg[3]
v_accvgpr_read_b32 v[vgprValuC+20], acc16 // copy acc to vreg[4]
v_accvgpr_read_b32 v[vgprValuC+21], acc20 // copy acc to vreg[5]
v_accvgpr_read_b32 v[vgprValuC+22], acc24 // copy acc to vreg[6]
v_accvgpr_read_b32 v[vgprValuC+23], acc28 // copy acc to vreg[7]
v_accvgpr_read_b32 v[vgprValuC+28], acc32 // copy acc to vreg[8]
v_accvgpr_read_b32 v[vgprValuC+29], acc36 // copy acc to vreg[9]
v_accvgpr_read_b32 v[vgprValuC+30], acc40 // copy acc to vreg[10]
v_accvgpr_read_b32 v[vgprValuC+31], acc44 // copy acc to vreg[11]
v_accvgpr_read_b32 v[vgprValuC+32], acc48 // copy acc to vreg[12]
v_accvgpr_read_b32 v[vgprValuC+33], acc52 // copy acc to vreg[13]
v_accvgpr_read_b32 v[vgprValuC+34], acc56 // copy acc to vreg[14]
v_accvgpr_read_b32 v[vgprValuC+35], acc60 // copy acc to vreg[15]
v_accvgpr_read_b32 v[vgprValuC+40], acc1 // copy acc to vreg[16]
v_accvgpr_read_b32 v[vgprValuC+41], acc5 // copy acc to vreg[17]
v_accvgpr_read_b32 v[vgprValuC+42], acc9 // copy acc to vreg[18]
v_accvgpr_read_b32 v[vgprValuC+43], acc13 // copy acc to vreg[19]
v_accvgpr_read_b32 v[vgprValuC+44], acc17 // copy acc to vreg[20]
v_accvgpr_read_b32 v[vgprValuC+45], acc21 // copy acc to vreg[21]
v_accvgpr_read_b32 v[vgprValuC+46], acc25 // copy acc to vreg[22]
v_accvgpr_read_b32 v[vgprValuC+47], acc29 // copy acc to vreg[23]
v_accvgpr_read_b32 v[vgprValuC+52], acc33 // copy acc to vreg[24]
v_accvgpr_read_b32 v[vgprValuC+53], acc37 // copy acc to vreg[25]
v_accvgpr_read_b32 v[vgprValuC+54], acc41 // copy acc to vreg[26]
v_accvgpr_read_b32 v[vgprValuC+55], acc45 // copy acc to vreg[27]
v_accvgpr_read_b32 v[vgprValuC+56], acc49 // copy acc to vreg[28]
v_accvgpr_read_b32 v[vgprValuC+57], acc53 // copy acc to vreg[29]
v_accvgpr_read_b32 v[vgprValuC+58], acc57 // copy acc to vreg[30]
v_accvgpr_read_b32 v[vgprValuC+59], acc61 // copy acc to vreg[31]
v_accvgpr_read_b32 v[vgprValuC+64], acc2 // copy acc to vreg[32]
v_accvgpr_read_b32 v[vgprValuC+65], acc6 // copy acc to vreg[33]
v_accvgpr_read_b32 v[vgprValuC+66], acc10 // copy acc to vreg[34]
v_accvgpr_read_b32 v[vgprValuC+67], acc14 // copy acc to vreg[35]
v_accvgpr_read_b32 v[vgprValuC+68], acc18 // copy acc to vreg[36]
v_accvgpr_read_b32 v[vgprValuC+69], acc22 // copy acc to vreg[37]
v_accvgpr_read_b32 v[vgprValuC+70], acc26 // copy acc to vreg[38]
v_accvgpr_read_b32 v[vgprValuC+71], acc30 // copy acc to vreg[39]
v_accvgpr_read_b32 v[vgprValuC+76], acc34 // copy acc to vreg[40]
v_accvgpr_read_b32 v[vgprValuC+77], acc38 // copy acc to vreg[41]
v_accvgpr_read_b32 v[vgprValuC+78], acc42 // copy acc to vreg[42]
v_accvgpr_read_b32 v[vgprValuC+79], acc46 // copy acc to vreg[43]
v_accvgpr_read_b32 v[vgprValuC+80], acc50 // copy acc to vreg[44]
v_accvgpr_read_b32 v[vgprValuC+81], acc54 // copy acc to vreg[45]
v_accvgpr_read_b32 v[vgprValuC+82], acc58 // copy acc to vreg[46]
v_accvgpr_read_b32 v[vgprValuC+83], acc62 // copy acc to vreg[47]
v_accvgpr_read_b32 v[vgprValuC+88], acc3 // copy acc to vreg[48]
v_accvgpr_read_b32 v[vgprValuC+89], acc7 // copy acc to vreg[49]
v_accvgpr_read_b32 v[vgprValuC+90], acc11 // copy acc to vreg[50]
v_accvgpr_read_b32 v[vgprValuC+91], acc15 // copy acc to vreg[51]
v_accvgpr_read_b32 v[vgprValuC+92], acc19 // copy acc to vreg[52]
v_accvgpr_read_b32 v[vgprValuC+93], acc23 // copy acc to vreg[53]
v_accvgpr_read_b32 v[vgprValuC+94], acc27 // copy acc to vreg[54]
v_accvgpr_read_b32 v[vgprValuC+95], acc31 // copy acc to vreg[55]
v_accvgpr_read_b32 v[vgprValuC+100], acc35 // copy acc to vreg[56]
v_accvgpr_read_b32 v[vgprValuC+101], acc39 // copy acc to vreg[57]
v_accvgpr_read_b32 v[vgprValuC+102], acc43 // copy acc to vreg[58]
v_accvgpr_read_b32 v[vgprValuC+103], acc47 // copy acc to vreg[59]
v_accvgpr_read_b32 v[vgprValuC+104], acc51 // copy acc to vreg[60]
v_accvgpr_read_b32 v[vgprValuC+105], acc55 // copy acc to vreg[61]
v_accvgpr_read_b32 v[vgprValuC+106], acc59 // copy acc to vreg[62]
v_accvgpr_read_b32 v[vgprValuC+107], acc63 // copy acc to vreg[63]
v_accvgpr_read_b32 v[vgprValuC+112], acc64 // copy acc to vreg[64]
v_accvgpr_read_b32 v[vgprValuC+113], acc68 // copy acc to vreg[65]
v_accvgpr_read_b32 v[vgprValuC+114], acc72 // copy acc to vreg[66]
v_accvgpr_read_b32 v[vgprValuC+115], acc76 // copy acc to vreg[67]
v_accvgpr_read_b32 v[vgprValuC+120], acc80 // copy acc to vreg[68]
v_accvgpr_read_b32 v[vgprValuC+121], acc84 // copy acc to vreg[69]
v_accvgpr_read_b32 v[vgprValuC+122], acc88 // copy acc to vreg[70]
v_accvgpr_read_b32 v[vgprValuC+123], acc92 // copy acc to vreg[71]
v_accvgpr_read_b32 v[vgprValuC+128], acc96 // copy acc to vreg[72]
v_accvgpr_read_b32 v[vgprValuC+129], acc100 // copy acc to vreg[73]
v_accvgpr_read_b32 v[vgprValuC+130], acc104 // copy acc to vreg[74]
v_accvgpr_read_b32 v[vgprValuC+131], acc108 // copy acc to vreg[75]
v_accvgpr_read_b32 v[vgprValuC+132], acc112 // copy acc to vreg[76]
v_accvgpr_read_b32 v[vgprValuC+133], acc116 // copy acc to vreg[77]
v_accvgpr_read_b32 v[vgprValuC+134], acc120 // copy acc to vreg[78]
v_accvgpr_read_b32 v[vgprValuC+135], acc124 // copy acc to vreg[79]
v_accvgpr_read_b32 v[vgprValuC+140], acc65 // copy acc to vreg[80]
v_accvgpr_read_b32 v[vgprValuC+141], acc69 // copy acc to vreg[81]
v_accvgpr_read_b32 v[vgprValuC+142], acc73 // copy acc to vreg[82]
v_accvgpr_read_b32 v[vgprValuC+143], acc77 // copy acc to vreg[83]
v_accvgpr_read_b32 v[vgprValuC+144], acc81 // copy acc to vreg[84]
v_accvgpr_read_b32 v[vgprValuC+145], acc85 // copy acc to vreg[85]
v_accvgpr_read_b32 v[vgprValuC+146], acc89 // copy acc to vreg[86]
v_accvgpr_read_b32 v[vgprValuC+147], acc93 // copy acc to vreg[87]
v_accvgpr_read_b32 v[vgprValuC+152], acc97 // copy acc to vreg[88]
v_accvgpr_read_b32 v[vgprValuC+153], acc101 // copy acc to vreg[89]
v_accvgpr_read_b32 v[vgprValuC+154], acc105 // copy acc to vreg[90]
v_accvgpr_read_b32 v[vgprValuC+155], acc109 // copy acc to vreg[91]
v_accvgpr_read_b32 v[vgprValuC+156], acc113 // copy acc to vreg[92]
v_accvgpr_read_b32 v[vgprValuC+157], acc117 // copy acc to vreg[93]
v_accvgpr_read_b32 v[vgprValuC+158], acc121 // copy acc to vreg[94]
v_accvgpr_read_b32 v[vgprValuC+159], acc125 // copy acc to vreg[95]
v_accvgpr_read_b32 v[vgprValuC+164], acc66 // copy acc to vreg[96]
v_accvgpr_read_b32 v[vgprValuC+165], acc70 // copy acc to vreg[97]
v_accvgpr_read_b32 v[vgprValuC+166], acc74 // copy acc to vreg[98]
v_accvgpr_read_b32 v[vgprValuC+167], acc78 // copy acc to vreg[99]
v_accvgpr_read_b32 v[vgprValuC+168], acc82 // copy acc to vreg[100]
v_accvgpr_read_b32 v[vgprValuC+169], acc86 // copy acc to vreg[101]
v_accvgpr_read_b32 v[vgprValuC+170], acc90 // copy acc to vreg[102]
v_accvgpr_read_b32 v[vgprValuC+171], acc94 // copy acc to vreg[103]
v_accvgpr_read_b32 v[vgprValuC+176], acc98 // copy acc to vreg[104]
v_accvgpr_read_b32 v[vgprValuC+177], acc102 // copy acc to vreg[105]
v_accvgpr_read_b32 v[vgprValuC+178], acc106 // copy acc to vreg[106]
v_accvgpr_read_b32 v[vgprValuC+179], acc110 // copy acc to vreg[107]
v_accvgpr_read_b32 v[vgprValuC+180], acc114 // copy acc to vreg[108]
v_accvgpr_read_b32 v[vgprValuC+181], acc118 // copy acc to vreg[109]
v_accvgpr_read_b32 v[vgprValuC+182], acc122 // copy acc to vreg[110]
v_accvgpr_read_b32 v[vgprValuC+183], acc126 // copy acc to vreg[111]
v_accvgpr_read_b32 v[vgprValuC+188], acc67 // copy acc to vreg[112]
v_accvgpr_read_b32 v[vgprValuC+189], acc71 // copy acc to vreg[113]
v_accvgpr_read_b32 v[vgprValuC+190], acc75 // copy acc to vreg[114]
v_accvgpr_read_b32 v[vgprValuC+191], acc79 // copy acc to vreg[115]
v_accvgpr_read_b32 v[vgprValuC+192], acc83 // copy acc to vreg[116]
v_accvgpr_read_b32 v[vgprValuC+193], acc87 // copy acc to vreg[117]
v_accvgpr_read_b32 v[vgprValuC+194], acc91 // copy acc to vreg[118]
v_accvgpr_read_b32 v[vgprValuC+195], acc95 // copy acc to vreg[119]
v_accvgpr_read_b32 v[vgprValuC+200], acc99 // copy acc to vreg[120]
v_accvgpr_read_b32 v[vgprValuC+201], acc103 // copy acc to vreg[121]
v_accvgpr_read_b32 v[vgprValuC+202], acc107 // copy acc to vreg[122]
v_accvgpr_read_b32 v[vgprValuC+203], acc111 // copy acc to vreg[123]
v_accvgpr_read_b32 v[vgprValuC+204], acc115 // copy acc to vreg[124]
v_accvgpr_read_b32 v[vgprValuC+205], acc119 // copy acc to vreg[125]
v_accvgpr_read_b32 v[vgprValuC+206], acc123 // copy acc to vreg[126]
v_accvgpr_read_b32 v[vgprValuC+207], acc127 // copy acc to vreg[127]
v_accvgpr_read_b32 v[vgprValuC+212], acc128 // copy acc to vreg[128]
v_accvgpr_read_b32 v[vgprValuC+213], acc132 // copy acc to vreg[129]
v_accvgpr_read_b32 v[vgprValuC+214], acc136 // copy acc to vreg[130]
v_accvgpr_read_b32 v[vgprValuC+215], acc140 // copy acc to vreg[131]
v_accvgpr_read_b32 v[vgprValuC+216], acc144 // copy acc to vreg[132]
v_accvgpr_read_b32 v[vgprValuC+217], acc148 // copy acc to vreg[133]
v_accvgpr_read_b32 v[vgprValuC+218], acc152 // copy acc to vreg[134]
v_accvgpr_read_b32 v[vgprValuC+219], acc156 // copy acc to vreg[135]
v_accvgpr_read_b32 v[vgprValuC+224], acc160 // copy acc to vreg[136]
v_accvgpr_read_b32 v[vgprValuC+225], acc164 // copy acc to vreg[137]
v_accvgpr_read_b32 v[vgprValuC+226], acc168 // copy acc to vreg[138]
v_accvgpr_read_b32 v[vgprValuC+227], acc172 // copy acc to vreg[139]
v_accvgpr_read_b32 v[vgprValuC+228], acc176 // copy acc to vreg[140]
v_accvgpr_read_b32 v[vgprValuC+229], acc180 // copy acc to vreg[141]
v_accvgpr_read_b32 v[vgprValuC+230], acc184 // copy acc to vreg[142]
v_accvgpr_read_b32 v[vgprValuC+231], acc188 // copy acc to vreg[143]
v_accvgpr_read_b32 v[vgprValuC+236], acc129 // copy acc to vreg[144]
v_accvgpr_read_b32 v[vgprValuC+237], acc133 // copy acc to vreg[145]
v_accvgpr_read_b32 v[vgprValuC+238], acc137 // copy acc to vreg[146]
v_accvgpr_read_b32 v[vgprValuC+239], acc141 // copy acc to vreg[147]
v_accvgpr_read_b32 v[vgprValuC+240], acc145 // copy acc to vreg[148]
v_accvgpr_read_b32 v[vgprValuC+241], acc149 // copy acc to vreg[149]
v_accvgpr_read_b32 v[vgprValuC+242], acc153 // copy acc to vreg[150]
v_accvgpr_read_b32 v[vgprValuC+243], acc157 // copy acc to vreg[151]
s_nop 1                                            // 2 wait states required before reading vgpr

/* rC *= alpha batchElements=[(0, 0, 0, 0), (0, 1, 0, 0), (0, 2, 0, 0), (0, 3, 0, 0), (0, 0, 1, 0), (0, 1, 1, 0), (0, 2, 1, 0), (0, 3, 1, 0), (0, 0, 2, 0), (0, 1, 2, 0), (0, 2, 2, 0), (0, 3, 2, 0), (0, 0, 3, 0), (0, 1, 3, 0), (0, 2, 3, 0), (0, 3, 3, 0), (1, 0, 0, 0), (1, 1, 0, 0), (1, 2, 0, 0), (1, 3, 0, 0), (1, 0, 1, 0), (1, 1, 1, 0), (1, 2, 1, 0), (1, 3, 1, 0), (1, 0, 2, 0), (1, 1, 2, 0), (1, 2, 2, 0), (1, 3, 2, 0), (1, 0, 3, 0), (1, 1, 3, 0), (1, 2, 3, 0), (1, 3, 3, 0), (2, 0, 0, 0), (2, 1, 0, 0), (2, 2, 0, 0), (2, 3, 0, 0), (2, 0, 1, 0), (2, 1, 1, 0)] */
v_mul_f32 v[vgprValuC+16], s[sgprAlpha], v[vgprValuC+16] // *= alpha
v_mul_f32 v[vgprValuC+17], s[sgprAlpha], v[vgprValuC+17] // *= alpha
	;; [unrolled: 1-line block ×152, first 2 shown]
s_waitcnt vmcnt(0)                                 // wait C

/* apply mask, calc new C and issue writes */
v_mov_b32 v7, 0xffff0000                           // mask for pack two bfloat16 element to 32bit
v_mov_b32 v8, 0x7fff0000                           // fp32 Nan
v_mov_b32 v9, 0x7fff                               // rounding bias for bfloat16
v_lshlrev_b32 v4, 16, v12                          // convert bf16 to fp32
_v_mac_f32 v[vgprValuC+16], v4, s[sgprBeta]        // finalSum = sum*alpha + C*beta
v_and_b32 v4, v12, v7                              // convert bf16 to fp32
_v_mac_f32 v[vgprValuC+17], v4, s[sgprBeta]        // finalSum = sum*alpha + C*beta
v_lshlrev_b32 v4, 16, v13                          // convert bf16 to fp32
_v_mac_f32 v[vgprValuC+18], v4, s[sgprBeta]        // finalSum = sum*alpha + C*beta
v_and_b32 v4, v13, v7                              // convert bf16 to fp32
_v_mac_f32 v[vgprValuC+19], v4, s[sgprBeta]        // finalSum = sum*alpha + C*beta
v_cmp_u_f32 s[54:55], v[vgprValuC+16], v[vgprValuC+16] // check Nan
v_bfe_u32 v6, v[vgprValuC+16], 16, 1               // Non-Nan case: store lsb of bf16
v_add3_u32 v6, v[vgprValuC+16], v6, v9             // Non-Nan case: add lsb and the increment for rounding
v_cndmask_b32 v[vgprValuC+16], v6, v8, s[54:55]    // 
v_lshrrev_b32 v[vgprValuC+16], 16, v[vgprValuC+16] // convert C to bf16
v_cmp_u_f32 s[54:55], v[vgprValuC+17], v[vgprValuC+17] // check Nan
v_bfe_u32 v6, v[vgprValuC+17], 16, 1               // Non-Nan case: store lsb of bf16
v_add3_u32 v6, v[vgprValuC+17], v6, v9             // Non-Nan case: add lsb and the increment for rounding
v_cndmask_b32 v[vgprValuC+17], v6, v8, s[54:55]    // 
v_and_or_b32 v16, v[vgprValuC+17], v7, v[vgprValuC+16] // pack two bf16 to dword
v_cmp_u_f32 s[54:55], v[vgprValuC+18], v[vgprValuC+18] // check Nan
v_bfe_u32 v6, v[vgprValuC+18], 16, 1               // Non-Nan case: store lsb of bf16
v_add3_u32 v6, v[vgprValuC+18], v6, v9             // Non-Nan case: add lsb and the increment for rounding
v_cndmask_b32 v[vgprValuC+18], v6, v8, s[54:55]    // 
v_lshrrev_b32 v[vgprValuC+18], 16, v[vgprValuC+18] // convert C to bf16
v_cmp_u_f32 s[54:55], v[vgprValuC+19], v[vgprValuC+19] // check Nan
v_bfe_u32 v6, v[vgprValuC+19], 16, 1               // Non-Nan case: store lsb of bf16
v_add3_u32 v6, v[vgprValuC+19], v6, v9             // Non-Nan case: add lsb and the increment for rounding
v_cndmask_b32 v[vgprValuC+19], v6, v8, s[54:55]    // 
v_and_or_b32 v17, v[vgprValuC+19], v7, v[vgprValuC+18] // pack two bf16 to dword
v_lshlrev_b32 v4, 16, v14                          // convert bf16 to fp32
_v_mac_f32 v[vgprValuC+20], v4, s[sgprBeta]        // finalSum = sum*alpha + C*beta
v_and_b32 v4, v14, v7                              // convert bf16 to fp32
_v_mac_f32 v[vgprValuC+21], v4, s[sgprBeta]        // finalSum = sum*alpha + C*beta
v_lshlrev_b32 v4, 16, v15                          // convert bf16 to fp32
_v_mac_f32 v[vgprValuC+22], v4, s[sgprBeta]        // finalSum = sum*alpha + C*beta
v_and_b32 v4, v15, v7                              // convert bf16 to fp32
_v_mac_f32 v[vgprValuC+23], v4, s[sgprBeta]        // finalSum = sum*alpha + C*beta
v_cmp_u_f32 s[54:55], v[vgprValuC+20], v[vgprValuC+20] // check Nan
v_bfe_u32 v6, v[vgprValuC+20], 16, 1               // Non-Nan case: store lsb of bf16
v_add3_u32 v6, v[vgprValuC+20], v6, v9             // Non-Nan case: add lsb and the increment for rounding
v_cndmask_b32 v[vgprValuC+20], v6, v8, s[54:55]    // 
v_lshrrev_b32 v[vgprValuC+20], 16, v[vgprValuC+20] // convert C to bf16
v_cmp_u_f32 s[54:55], v[vgprValuC+21], v[vgprValuC+21] // check Nan
v_bfe_u32 v6, v[vgprValuC+21], 16, 1               // Non-Nan case: store lsb of bf16
v_add3_u32 v6, v[vgprValuC+21], v6, v9             // Non-Nan case: add lsb and the increment for rounding
v_cndmask_b32 v[vgprValuC+21], v6, v8, s[54:55]    // 
v_and_or_b32 v20, v[vgprValuC+21], v7, v[vgprValuC+20] // pack two bf16 to dword
v_cmp_u_f32 s[54:55], v[vgprValuC+22], v[vgprValuC+22] // check Nan
v_bfe_u32 v6, v[vgprValuC+22], 16, 1               // Non-Nan case: store lsb of bf16
v_add3_u32 v6, v[vgprValuC+22], v6, v9             // Non-Nan case: add lsb and the increment for rounding
v_cndmask_b32 v[vgprValuC+22], v6, v8, s[54:55]    // 
v_lshrrev_b32 v[vgprValuC+22], 16, v[vgprValuC+22] // convert C to bf16
v_cmp_u_f32 s[54:55], v[vgprValuC+23], v[vgprValuC+23] // check Nan
v_bfe_u32 v6, v[vgprValuC+23], 16, 1               // Non-Nan case: store lsb of bf16
v_add3_u32 v6, v[vgprValuC+23], v6, v9             // Non-Nan case: add lsb and the increment for rounding
v_cndmask_b32 v[vgprValuC+23], v6, v8, s[54:55]    // 
v_and_or_b32 v21, v[vgprValuC+23], v7, v[vgprValuC+22] // pack two bf16 to dword
	;; [unrolled: 28-line block ×14, first 2 shown]
v_lshlrev_b32 v4, 16, v96                          // convert bf16 to fp32
_v_mac_f32 v[vgprValuC+100], v4, s[sgprBeta]       // finalSum = sum*alpha + C*beta
v_and_b32 v4, v96, v7                              // convert bf16 to fp32
_v_mac_f32 v[vgprValuC+101], v4, s[sgprBeta]       // finalSum = sum*alpha + C*beta
v_lshlrev_b32 v4, 16, v97                          // convert bf16 to fp32
_v_mac_f32 v[vgprValuC+102], v4, s[sgprBeta]       // finalSum = sum*alpha + C*beta
v_and_b32 v4, v97, v7                              // convert bf16 to fp32
_v_mac_f32 v[vgprValuC+103], v4, s[sgprBeta]       // finalSum = sum*alpha + C*beta
v_cmp_u_f32 s[54:55], v[vgprValuC+100], v[vgprValuC+100] // check Nan
v_bfe_u32 v6, v[vgprValuC+100], 16, 1              // Non-Nan case: store lsb of bf16
v_add3_u32 v6, v[vgprValuC+100], v6, v9            // Non-Nan case: add lsb and the increment for rounding
v_cndmask_b32 v[vgprValuC+100], v6, v8, s[54:55]   // 
v_lshrrev_b32 v[vgprValuC+100], 16, v[vgprValuC+100] // convert C to bf16
v_cmp_u_f32 s[54:55], v[vgprValuC+101], v[vgprValuC+101] // check Nan
v_bfe_u32 v6, v[vgprValuC+101], 16, 1              // Non-Nan case: store lsb of bf16
v_add3_u32 v6, v[vgprValuC+101], v6, v9            // Non-Nan case: add lsb and the increment for rounding
v_cndmask_b32 v[vgprValuC+101], v6, v8, s[54:55]   // 
v_and_or_b32 v100, v[vgprValuC+101], v7, v[vgprValuC+100] // pack two bf16 to dword
v_cmp_u_f32 s[54:55], v[vgprValuC+102], v[vgprValuC+102] // check Nan
v_bfe_u32 v6, v[vgprValuC+102], 16, 1              // Non-Nan case: store lsb of bf16
v_add3_u32 v6, v[vgprValuC+102], v6, v9            // Non-Nan case: add lsb and the increment for rounding
v_cndmask_b32 v[vgprValuC+102], v6, v8, s[54:55]   // 
v_lshrrev_b32 v[vgprValuC+102], 16, v[vgprValuC+102] // convert C to bf16
v_cmp_u_f32 s[54:55], v[vgprValuC+103], v[vgprValuC+103] // check Nan
v_bfe_u32 v6, v[vgprValuC+103], 16, 1              // Non-Nan case: store lsb of bf16
v_add3_u32 v6, v[vgprValuC+103], v6, v9            // Non-Nan case: add lsb and the increment for rounding
v_cndmask_b32 v[vgprValuC+103], v6, v8, s[54:55]   // 
v_and_or_b32 v101, v[vgprValuC+103], v7, v[vgprValuC+102] // pack two bf16 to dword
v_lshlrev_b32 v4, 16, v98                          // convert bf16 to fp32
_v_mac_f32 v[vgprValuC+104], v4, s[sgprBeta]       // finalSum = sum*alpha + C*beta
v_and_b32 v4, v98, v7                              // convert bf16 to fp32
_v_mac_f32 v[vgprValuC+105], v4, s[sgprBeta]       // finalSum = sum*alpha + C*beta
v_lshlrev_b32 v4, 16, v99                          // convert bf16 to fp32
_v_mac_f32 v[vgprValuC+106], v4, s[sgprBeta]       // finalSum = sum*alpha + C*beta
v_and_b32 v4, v99, v7                              // convert bf16 to fp32
_v_mac_f32 v[vgprValuC+107], v4, s[sgprBeta]       // finalSum = sum*alpha + C*beta
v_cmp_u_f32 s[54:55], v[vgprValuC+104], v[vgprValuC+104] // check Nan
v_bfe_u32 v6, v[vgprValuC+104], 16, 1              // Non-Nan case: store lsb of bf16
v_add3_u32 v6, v[vgprValuC+104], v6, v9            // Non-Nan case: add lsb and the increment for rounding
v_cndmask_b32 v[vgprValuC+104], v6, v8, s[54:55]   // 
v_lshrrev_b32 v[vgprValuC+104], 16, v[vgprValuC+104] // convert C to bf16
v_cmp_u_f32 s[54:55], v[vgprValuC+105], v[vgprValuC+105] // check Nan
v_bfe_u32 v6, v[vgprValuC+105], 16, 1              // Non-Nan case: store lsb of bf16
v_add3_u32 v6, v[vgprValuC+105], v6, v9            // Non-Nan case: add lsb and the increment for rounding
v_cndmask_b32 v[vgprValuC+105], v6, v8, s[54:55]   // 
v_and_or_b32 v104, v[vgprValuC+105], v7, v[vgprValuC+104] // pack two bf16 to dword
v_cmp_u_f32 s[54:55], v[vgprValuC+106], v[vgprValuC+106] // check Nan
v_bfe_u32 v6, v[vgprValuC+106], 16, 1              // Non-Nan case: store lsb of bf16
v_add3_u32 v6, v[vgprValuC+106], v6, v9            // Non-Nan case: add lsb and the increment for rounding
v_cndmask_b32 v[vgprValuC+106], v6, v8, s[54:55]   // 
v_lshrrev_b32 v[vgprValuC+106], 16, v[vgprValuC+106] // convert C to bf16
v_cmp_u_f32 s[54:55], v[vgprValuC+107], v[vgprValuC+107] // check Nan
v_bfe_u32 v6, v[vgprValuC+107], 16, 1              // Non-Nan case: store lsb of bf16
v_add3_u32 v6, v[vgprValuC+107], v6, v9            // Non-Nan case: add lsb and the increment for rounding
v_cndmask_b32 v[vgprValuC+107], v6, v8, s[54:55]   // 
v_and_or_b32 v105, v[vgprValuC+107], v7, v[vgprValuC+106] // pack two bf16 to dword
v_lshlrev_b32 v4, 16, v108                         // convert bf16 to fp32
_v_mac_f32 v[vgprValuC+112], v4, s[sgprBeta]       // finalSum = sum*alpha + C*beta
v_and_b32 v4, v108, v7                             // convert bf16 to fp32
_v_mac_f32 v[vgprValuC+113], v4, s[sgprBeta]       // finalSum = sum*alpha + C*beta
v_lshlrev_b32 v4, 16, v109                         // convert bf16 to fp32
_v_mac_f32 v[vgprValuC+114], v4, s[sgprBeta]       // finalSum = sum*alpha + C*beta
v_and_b32 v4, v109, v7                             // convert bf16 to fp32
_v_mac_f32 v[vgprValuC+115], v4, s[sgprBeta]       // finalSum = sum*alpha + C*beta
v_cmp_u_f32 s[54:55], v[vgprValuC+112], v[vgprValuC+112] // check Nan
v_bfe_u32 v6, v[vgprValuC+112], 16, 1              // Non-Nan case: store lsb of bf16
v_add3_u32 v6, v[vgprValuC+112], v6, v9            // Non-Nan case: add lsb and the increment for rounding
v_cndmask_b32 v[vgprValuC+112], v6, v8, s[54:55]   // 
v_lshrrev_b32 v[vgprValuC+112], 16, v[vgprValuC+112] // convert C to bf16
v_cmp_u_f32 s[54:55], v[vgprValuC+113], v[vgprValuC+113] // check Nan
v_bfe_u32 v6, v[vgprValuC+113], 16, 1              // Non-Nan case: store lsb of bf16
v_add3_u32 v6, v[vgprValuC+113], v6, v9            // Non-Nan case: add lsb and the increment for rounding
v_cndmask_b32 v[vgprValuC+113], v6, v8, s[54:55]   // 
v_and_or_b32 v112, v[vgprValuC+113], v7, v[vgprValuC+112] // pack two bf16 to dword
v_cmp_u_f32 s[54:55], v[vgprValuC+114], v[vgprValuC+114] // check Nan
v_bfe_u32 v6, v[vgprValuC+114], 16, 1              // Non-Nan case: store lsb of bf16
v_add3_u32 v6, v[vgprValuC+114], v6, v9            // Non-Nan case: add lsb and the increment for rounding
v_cndmask_b32 v[vgprValuC+114], v6, v8, s[54:55]   // 
v_lshrrev_b32 v[vgprValuC+114], 16, v[vgprValuC+114] // convert C to bf16
v_cmp_u_f32 s[54:55], v[vgprValuC+115], v[vgprValuC+115] // check Nan
v_bfe_u32 v6, v[vgprValuC+115], 16, 1              // Non-Nan case: store lsb of bf16
v_add3_u32 v6, v[vgprValuC+115], v6, v9            // Non-Nan case: add lsb and the increment for rounding
v_cndmask_b32 v[vgprValuC+115], v6, v8, s[54:55]   // 
v_and_or_b32 v113, v[vgprValuC+115], v7, v[vgprValuC+114] // pack two bf16 to dword
v_lshlrev_b32 v4, 16, v110                         // convert bf16 to fp32
_v_mac_f32 v[vgprValuC+120], v4, s[sgprBeta]       // finalSum = sum*alpha + C*beta
v_and_b32 v4, v110, v7                             // convert bf16 to fp32
_v_mac_f32 v[vgprValuC+121], v4, s[sgprBeta]       // finalSum = sum*alpha + C*beta
v_lshlrev_b32 v4, 16, v111                         // convert bf16 to fp32
_v_mac_f32 v[vgprValuC+122], v4, s[sgprBeta]       // finalSum = sum*alpha + C*beta
v_and_b32 v4, v111, v7                             // convert bf16 to fp32
	;; [unrolled: 28-line block ×22, first 2 shown]
_v_mac_f32 v[vgprValuC+243], v4, s[sgprBeta]       // finalSum = sum*alpha + C*beta
v_cmp_u_f32 s[54:55], v[vgprValuC+240], v[vgprValuC+240] // check Nan
v_bfe_u32 v6, v[vgprValuC+240], 16, 1              // Non-Nan case: store lsb of bf16
v_add3_u32 v6, v[vgprValuC+240], v6, v9            // Non-Nan case: add lsb and the increment for rounding
v_cndmask_b32 v[vgprValuC+240], v6, v8, s[54:55]   // 
v_lshrrev_b32 v[vgprValuC+240], 16, v[vgprValuC+240] // convert C to bf16
v_cmp_u_f32 s[54:55], v[vgprValuC+241], v[vgprValuC+241] // check Nan
v_bfe_u32 v6, v[vgprValuC+241], 16, 1              // Non-Nan case: store lsb of bf16
v_add3_u32 v6, v[vgprValuC+241], v6, v9            // Non-Nan case: add lsb and the increment for rounding
v_cndmask_b32 v[vgprValuC+241], v6, v8, s[54:55]   // 
v_and_or_b32 v240, v[vgprValuC+241], v7, v[vgprValuC+240] // pack two bf16 to dword
v_cmp_u_f32 s[54:55], v[vgprValuC+242], v[vgprValuC+242] // check Nan
v_bfe_u32 v6, v[vgprValuC+242], 16, 1              // Non-Nan case: store lsb of bf16
v_add3_u32 v6, v[vgprValuC+242], v6, v9            // Non-Nan case: add lsb and the increment for rounding
v_cndmask_b32 v[vgprValuC+242], v6, v8, s[54:55]   // 
v_lshrrev_b32 v[vgprValuC+242], 16, v[vgprValuC+242] // convert C to bf16
v_cmp_u_f32 s[54:55], v[vgprValuC+243], v[vgprValuC+243] // check Nan
v_bfe_u32 v6, v[vgprValuC+243], 16, 1              // Non-Nan case: store lsb of bf16
v_add3_u32 v6, v[vgprValuC+243], v6, v9            // Non-Nan case: add lsb and the increment for rounding
v_cndmask_b32 v[vgprValuC+243], v6, v8, s[54:55]   // 
v_and_or_b32 v241, v[vgprValuC+243], v7, v[vgprValuC+242] // pack two bf16 to dword
_buffer_store_b64 v[16:17], v10, s[sgprSrdD:sgprSrdD+3], 0, offen, offset:0,  sc0 sc1 // store D
_buffer_store_b64 v[20:21], v10, s[sgprSrdD:sgprSrdD+3], 0, offen, offset:128,  sc0 sc1 // store D
_buffer_store_b64 v[28:29], v10, s[sgprSrdD:sgprSrdD+3], 0, offen, offset:256,  sc0 sc1 // store D
_buffer_store_b64 v[32:33], v10, s[sgprSrdD:sgprSrdD+3], 0, offen, offset:384,  sc0 sc1 // store D
s_lshl_b32  s54, s[sgprStrideD1J], 1               // incToNextRow: Scale by BPE
s_add_u32  s[sgprSrdD+0], s[sgprSrdD+0], s54       // incToNextRow: gra SRD += inc(lower)
s_addc_u32  s[sgprSrdD+1], s[sgprSrdD+1], 0        // incToNextRow: gra SRD += inc(upper)
_buffer_store_b64 v[40:41], v10, s[sgprSrdD:sgprSrdD+3], 0, offen, offset:0,  sc0 sc1 // store D
_buffer_store_b64 v[44:45], v10, s[sgprSrdD:sgprSrdD+3], 0, offen, offset:128,  sc0 sc1 // store D
_buffer_store_b64 v[52:53], v10, s[sgprSrdD:sgprSrdD+3], 0, offen, offset:256,  sc0 sc1 // store D
_buffer_store_b64 v[56:57], v10, s[sgprSrdD:sgprSrdD+3], 0, offen, offset:384,  sc0 sc1 // store D
s_lshl_b32  s54, s[sgprStrideD1J], 1               // incToNextRow: Scale by BPE
s_add_u32  s[sgprSrdD+0], s[sgprSrdD+0], s54       // incToNextRow: gra SRD += inc(lower)
s_addc_u32  s[sgprSrdD+1], s[sgprSrdD+1], 0        // incToNextRow: gra SRD += inc(upper)
	;; [unrolled: 7-line block ×3, first 2 shown]
_buffer_store_b64 v[88:89], v10, s[sgprSrdD:sgprSrdD+3], 0, offen, offset:0,  sc0 sc1 // store D
_buffer_store_b64 v[92:93], v10, s[sgprSrdD:sgprSrdD+3], 0, offen, offset:128,  sc0 sc1 // store D
	;; [unrolled: 1-line block ×4, first 2 shown]
s_mul_i32 s54, s[sgprStrideD1J], 122               // scale StrideD *= numRows(61) * bpe
s_add_u32  s[sgprSrdD+0], s[sgprSrdD+0], s54       // incToNextRow: gra SRD += inc(lower)
s_addc_u32  s[sgprSrdD+1], s[sgprSrdD+1], 0        // incToNextRow: gra SRD += inc(upper)
_buffer_store_b64 v[112:113], v10, s[sgprSrdD:sgprSrdD+3], 0, offen, offset:0,  sc0 sc1 // store D
_buffer_store_b64 v[120:121], v10, s[sgprSrdD:sgprSrdD+3], 0, offen, offset:128,  sc0 sc1 // store D
_buffer_store_b64 v[128:129], v10, s[sgprSrdD:sgprSrdD+3], 0, offen, offset:256,  sc0 sc1 // store D
_buffer_store_b64 v[132:133], v10, s[sgprSrdD:sgprSrdD+3], 0, offen, offset:384,  sc0 sc1 // store D
s_lshl_b32  s54, s[sgprStrideD1J], 1               // incToNextRow: Scale by BPE
s_add_u32  s[sgprSrdD+0], s[sgprSrdD+0], s54       // incToNextRow: gra SRD += inc(lower)
s_addc_u32  s[sgprSrdD+1], s[sgprSrdD+1], 0        // incToNextRow: gra SRD += inc(upper)
_buffer_store_b64 v[140:141], v10, s[sgprSrdD:sgprSrdD+3], 0, offen, offset:0,  sc0 sc1 // store D
_buffer_store_b64 v[144:145], v10, s[sgprSrdD:sgprSrdD+3], 0, offen, offset:128,  sc0 sc1 // store D
_buffer_store_b64 v[152:153], v10, s[sgprSrdD:sgprSrdD+3], 0, offen, offset:256,  sc0 sc1 // store D
_buffer_store_b64 v[156:157], v10, s[sgprSrdD:sgprSrdD+3], 0, offen, offset:384,  sc0 sc1 // store D
s_lshl_b32  s54, s[sgprStrideD1J], 1               // incToNextRow: Scale by BPE
s_add_u32  s[sgprSrdD+0], s[sgprSrdD+0], s54       // incToNextRow: gra SRD += inc(lower)
s_addc_u32  s[sgprSrdD+1], s[sgprSrdD+1], 0        // incToNextRow: gra SRD += inc(upper)
_buffer_store_b64 v[164:165], v10, s[sgprSrdD:sgprSrdD+3], 0, offen, offset:0,  sc0 sc1 // store D
_buffer_store_b64 v[168:169], v10, s[sgprSrdD:sgprSrdD+3], 0, offen, offset:128,  sc0 sc1 // store D
_buffer_store_b64 v[176:177], v10, s[sgprSrdD:sgprSrdD+3], 0, offen, offset:256,  sc0 sc1 // store D
_buffer_store_b64 v[180:181], v10, s[sgprSrdD:sgprSrdD+3], 0, offen, offset:384,  sc0 sc1 // store D
s_lshl_b32  s54, s[sgprStrideD1J], 1               // incToNextRow: Scale by BPE
s_add_u32  s[sgprSrdD+0], s[sgprSrdD+0], s54       // incToNextRow: gra SRD += inc(lower)
s_addc_u32  s[sgprSrdD+1], s[sgprSrdD+1], 0        // incToNextRow: gra SRD += inc(upper)
_buffer_store_b64 v[188:189], v10, s[sgprSrdD:sgprSrdD+3], 0, offen, offset:0,  sc0 sc1 // store D
_buffer_store_b64 v[192:193], v10, s[sgprSrdD:sgprSrdD+3], 0, offen, offset:128,  sc0 sc1 // store D
	;; [unrolled: 1-line block ×4, first 2 shown]
s_mul_i32 s54, s[sgprStrideD1J], 122               // scale StrideD *= numRows(61) * bpe
s_add_u32  s[sgprSrdD+0], s[sgprSrdD+0], s54       // incToNextRow: gra SRD += inc(lower)
s_addc_u32  s[sgprSrdD+1], s[sgprSrdD+1], 0        // incToNextRow: gra SRD += inc(upper)
_buffer_store_b64 v[212:213], v10, s[sgprSrdD:sgprSrdD+3], 0, offen, offset:0,  sc0 sc1 // store D
_buffer_store_b64 v[216:217], v10, s[sgprSrdD:sgprSrdD+3], 0, offen, offset:128,  sc0 sc1 // store D
	;; [unrolled: 1-line block ×4, first 2 shown]
s_lshl_b32  s54, s[sgprStrideD1J], 1               // incToNextRow: Scale by BPE
s_add_u32  s[sgprSrdD+0], s[sgprSrdD+0], s54       // incToNextRow: gra SRD += inc(lower)
s_addc_u32  s[sgprSrdD+1], s[sgprSrdD+1], 0        // incToNextRow: gra SRD += inc(upper)
_buffer_store_b64 v[236:237], v10, s[sgprSrdD:sgprSrdD+3], 0, offen, offset:0,  sc0 sc1 // store D
_buffer_store_b64 v[240:241], v10, s[sgprSrdD:sgprSrdD+3], 0, offen, offset:128,  sc0 sc1 // store D
s_nop 0                                            // 1 wait state required when next inst writes vgprs held by previous dwordx4 store inst
/* optSingleColVgpr=1 optSharedColVgpr=0 optSGPRUsage=BufferLoad_Mask optSrdIncForRow=1 */
s_sleep 5 // optimization: sync and wait
s_barrier

/******************************************/
/* Global Write Alpha Beta Batch #1 (d1,d0,vc1,vc0) = */
/*    (2,2,1,0:vw4); (2,3,1,0:vw4); (2,0,2,0:vw4); (2,1,2,0:vw4); (2,2,2,0:vw4); (2,3,2,0:vw4); (2,0,3,0:vw4); (2,1,3,0:vw4); (2,2,3,0:vw4); (2,3,3,0:vw4); (3,0,0,0:vw4); (3,1,0,0:vw4); (3,2,0,0:vw4); (3,3,0,0:vw4); (3,0,1,0:vw4); (3,1,1,0:vw4); (3,2,1,0:vw4); (3,3,1,0:vw4); (3,0,2,0:vw4); (3,1,2,0:vw4); (3,2,2,0:vw4); (3,3,2,0:vw4); (3,0,3,0:vw4); (3,1,3,0:vw4); (3,2,3,0:vw4); (3,3,3,0:vw4) */
/******************************************/

/* calc coords, apply mask, and issue loads (if necessary) */
/* (d1,vc1,d0,vc0)=(2,1,2,0) */
/* (d1,vc1,d0,vc0)=(2,1,3,0) */
	;; [unrolled: 1-line block ×26, first 2 shown]
_buffer_load_b64 v[12:13], v11, s[sgprSrdC:sgprSrdC+3], 0, offen offset:256,  sc0 sc1 // load C for beta calc
_buffer_load_b64 v[14:15], v11, s[sgprSrdC:sgprSrdC+3], 0, offen offset:384,  sc0 sc1 // load C for beta calc
s_lshl_b32  s54, s[sgprStrideC1J], 1               // incToNextRow: Scale by BPE
s_add_u32  s[sgprSrdC+0], s[sgprSrdC+0], s54       // incToNextRow: gra SRD += inc(lower)
s_addc_u32  s[sgprSrdC+1], s[sgprSrdC+1], 0        // incToNextRow: gra SRD += inc(upper)
_buffer_load_b64 v[24:25], v11, s[sgprSrdC:sgprSrdC+3], 0, offen offset:0,  sc0 sc1 // load C for beta calc
_buffer_load_b64 v[26:27], v11, s[sgprSrdC:sgprSrdC+3], 0, offen offset:128,  sc0 sc1 // load C for beta calc
	;; [unrolled: 1-line block ×4, first 2 shown]
s_lshl_b32  s54, s[sgprStrideC1J], 1               // incToNextRow: Scale by BPE
s_add_u32  s[sgprSrdC+0], s[sgprSrdC+0], s54       // incToNextRow: gra SRD += inc(lower)
s_addc_u32  s[sgprSrdC+1], s[sgprSrdC+1], 0        // incToNextRow: gra SRD += inc(upper)
_buffer_load_b64 v[48:49], v11, s[sgprSrdC:sgprSrdC+3], 0, offen offset:0,  sc0 sc1 // load C for beta calc
_buffer_load_b64 v[50:51], v11, s[sgprSrdC:sgprSrdC+3], 0, offen offset:128,  sc0 sc1 // load C for beta calc
	;; [unrolled: 1-line block ×4, first 2 shown]
s_mul_i32 s54, s[sgprStrideC1J], 122               // scale StrideC *= numRows(61) * bpe
s_add_u32  s[sgprSrdC+0], s[sgprSrdC+0], s54       // incToNextRow: gra SRD += inc(lower)
s_addc_u32  s[sgprSrdC+1], s[sgprSrdC+1], 0        // incToNextRow: gra SRD += inc(upper)
_buffer_load_b64 v[72:73], v11, s[sgprSrdC:sgprSrdC+3], 0, offen offset:0,  sc0 sc1 // load C for beta calc
_buffer_load_b64 v[74:75], v11, s[sgprSrdC:sgprSrdC+3], 0, offen offset:128,  sc0 sc1 // load C for beta calc
_buffer_load_b64 v[84:85], v11, s[sgprSrdC:sgprSrdC+3], 0, offen offset:256,  sc0 sc1 // load C for beta calc
_buffer_load_b64 v[86:87], v11, s[sgprSrdC:sgprSrdC+3], 0, offen offset:384,  sc0 sc1 // load C for beta calc
s_lshl_b32  s54, s[sgprStrideC1J], 1               // incToNextRow: Scale by BPE
s_add_u32  s[sgprSrdC+0], s[sgprSrdC+0], s54       // incToNextRow: gra SRD += inc(lower)
s_addc_u32  s[sgprSrdC+1], s[sgprSrdC+1], 0        // incToNextRow: gra SRD += inc(upper)
_buffer_load_b64 v[96:97], v11, s[sgprSrdC:sgprSrdC+3], 0, offen offset:0,  sc0 sc1 // load C for beta calc
_buffer_load_b64 v[98:99], v11, s[sgprSrdC:sgprSrdC+3], 0, offen offset:128,  sc0 sc1 // load C for beta calc
_buffer_load_b64 v[108:109], v11, s[sgprSrdC:sgprSrdC+3], 0, offen offset:256,  sc0 sc1 // load C for beta calc
_buffer_load_b64 v[110:111], v11, s[sgprSrdC:sgprSrdC+3], 0, offen offset:384,  sc0 sc1 // load C for beta calc
s_lshl_b32  s54, s[sgprStrideC1J], 1               // incToNextRow: Scale by BPE
	;; [unrolled: 7-line block ×3, first 2 shown]
s_add_u32  s[sgprSrdC+0], s[sgprSrdC+0], s54       // incToNextRow: gra SRD += inc(lower)
s_addc_u32  s[sgprSrdC+1], s[sgprSrdC+1], 0        // incToNextRow: gra SRD += inc(upper)
_buffer_load_b64 v[148:149], v11, s[sgprSrdC:sgprSrdC+3], 0, offen offset:0,  sc0 sc1 // load C for beta calc
_buffer_load_b64 v[150:151], v11, s[sgprSrdC:sgprSrdC+3], 0, offen offset:128,  sc0 sc1 // load C for beta calc
	;; [unrolled: 1-line block ×4, first 2 shown]
s_sleep 5 // optimization: sync and wait
s_barrier
v_accvgpr_read_b32 v[vgprValuC+16], acc161 // copy acc to vreg[152]
v_accvgpr_read_b32 v[vgprValuC+17], acc165 // copy acc to vreg[153]
v_accvgpr_read_b32 v[vgprValuC+18], acc169 // copy acc to vreg[154]
v_accvgpr_read_b32 v[vgprValuC+19], acc173 // copy acc to vreg[155]
v_accvgpr_read_b32 v[vgprValuC+20], acc177 // copy acc to vreg[156]
v_accvgpr_read_b32 v[vgprValuC+21], acc181 // copy acc to vreg[157]
v_accvgpr_read_b32 v[vgprValuC+22], acc185 // copy acc to vreg[158]
v_accvgpr_read_b32 v[vgprValuC+23], acc189 // copy acc to vreg[159]
v_accvgpr_read_b32 v[vgprValuC+28], acc130 // copy acc to vreg[160]
v_accvgpr_read_b32 v[vgprValuC+29], acc134 // copy acc to vreg[161]
v_accvgpr_read_b32 v[vgprValuC+30], acc138 // copy acc to vreg[162]
v_accvgpr_read_b32 v[vgprValuC+31], acc142 // copy acc to vreg[163]
v_accvgpr_read_b32 v[vgprValuC+32], acc146 // copy acc to vreg[164]
v_accvgpr_read_b32 v[vgprValuC+33], acc150 // copy acc to vreg[165]
v_accvgpr_read_b32 v[vgprValuC+34], acc154 // copy acc to vreg[166]
v_accvgpr_read_b32 v[vgprValuC+35], acc158 // copy acc to vreg[167]
v_accvgpr_read_b32 v[vgprValuC+40], acc162 // copy acc to vreg[168]
v_accvgpr_read_b32 v[vgprValuC+41], acc166 // copy acc to vreg[169]
v_accvgpr_read_b32 v[vgprValuC+42], acc170 // copy acc to vreg[170]
v_accvgpr_read_b32 v[vgprValuC+43], acc174 // copy acc to vreg[171]
v_accvgpr_read_b32 v[vgprValuC+44], acc178 // copy acc to vreg[172]
v_accvgpr_read_b32 v[vgprValuC+45], acc182 // copy acc to vreg[173]
v_accvgpr_read_b32 v[vgprValuC+46], acc186 // copy acc to vreg[174]
v_accvgpr_read_b32 v[vgprValuC+47], acc190 // copy acc to vreg[175]
v_accvgpr_read_b32 v[vgprValuC+52], acc131 // copy acc to vreg[176]
v_accvgpr_read_b32 v[vgprValuC+53], acc135 // copy acc to vreg[177]
v_accvgpr_read_b32 v[vgprValuC+54], acc139 // copy acc to vreg[178]
v_accvgpr_read_b32 v[vgprValuC+55], acc143 // copy acc to vreg[179]
v_accvgpr_read_b32 v[vgprValuC+56], acc147 // copy acc to vreg[180]
v_accvgpr_read_b32 v[vgprValuC+57], acc151 // copy acc to vreg[181]
v_accvgpr_read_b32 v[vgprValuC+58], acc155 // copy acc to vreg[182]
v_accvgpr_read_b32 v[vgprValuC+59], acc159 // copy acc to vreg[183]
v_accvgpr_read_b32 v[vgprValuC+64], acc163 // copy acc to vreg[184]
v_accvgpr_read_b32 v[vgprValuC+65], acc167 // copy acc to vreg[185]
v_accvgpr_read_b32 v[vgprValuC+66], acc171 // copy acc to vreg[186]
v_accvgpr_read_b32 v[vgprValuC+67], acc175 // copy acc to vreg[187]
v_accvgpr_read_b32 v[vgprValuC+68], acc179 // copy acc to vreg[188]
v_accvgpr_read_b32 v[vgprValuC+69], acc183 // copy acc to vreg[189]
v_accvgpr_read_b32 v[vgprValuC+70], acc187 // copy acc to vreg[190]
v_accvgpr_read_b32 v[vgprValuC+71], acc191 // copy acc to vreg[191]
v_accvgpr_read_b32 v[vgprValuC+76], acc192 // copy acc to vreg[192]
v_accvgpr_read_b32 v[vgprValuC+77], acc196 // copy acc to vreg[193]
v_accvgpr_read_b32 v[vgprValuC+78], acc200 // copy acc to vreg[194]
v_accvgpr_read_b32 v[vgprValuC+79], acc204 // copy acc to vreg[195]
v_accvgpr_read_b32 v[vgprValuC+80], acc208 // copy acc to vreg[196]
v_accvgpr_read_b32 v[vgprValuC+81], acc212 // copy acc to vreg[197]
v_accvgpr_read_b32 v[vgprValuC+82], acc216 // copy acc to vreg[198]
v_accvgpr_read_b32 v[vgprValuC+83], acc220 // copy acc to vreg[199]
v_accvgpr_read_b32 v[vgprValuC+88], acc224 // copy acc to vreg[200]
v_accvgpr_read_b32 v[vgprValuC+89], acc228 // copy acc to vreg[201]
v_accvgpr_read_b32 v[vgprValuC+90], acc232 // copy acc to vreg[202]
v_accvgpr_read_b32 v[vgprValuC+91], acc236 // copy acc to vreg[203]
v_accvgpr_read_b32 v[vgprValuC+92], acc240 // copy acc to vreg[204]
v_accvgpr_read_b32 v[vgprValuC+93], acc244 // copy acc to vreg[205]
v_accvgpr_read_b32 v[vgprValuC+94], acc248 // copy acc to vreg[206]
v_accvgpr_read_b32 v[vgprValuC+95], acc252 // copy acc to vreg[207]
v_accvgpr_read_b32 v[vgprValuC+100], acc193 // copy acc to vreg[208]
v_accvgpr_read_b32 v[vgprValuC+101], acc197 // copy acc to vreg[209]
v_accvgpr_read_b32 v[vgprValuC+102], acc201 // copy acc to vreg[210]
v_accvgpr_read_b32 v[vgprValuC+103], acc205 // copy acc to vreg[211]
v_accvgpr_read_b32 v[vgprValuC+104], acc209 // copy acc to vreg[212]
v_accvgpr_read_b32 v[vgprValuC+105], acc213 // copy acc to vreg[213]
v_accvgpr_read_b32 v[vgprValuC+106], acc217 // copy acc to vreg[214]
v_accvgpr_read_b32 v[vgprValuC+107], acc221 // copy acc to vreg[215]
v_accvgpr_read_b32 v[vgprValuC+112], acc225 // copy acc to vreg[216]
v_accvgpr_read_b32 v[vgprValuC+113], acc229 // copy acc to vreg[217]
v_accvgpr_read_b32 v[vgprValuC+114], acc233 // copy acc to vreg[218]
v_accvgpr_read_b32 v[vgprValuC+115], acc237 // copy acc to vreg[219]
v_accvgpr_read_b32 v[vgprValuC+120], acc241 // copy acc to vreg[220]
v_accvgpr_read_b32 v[vgprValuC+121], acc245 // copy acc to vreg[221]
v_accvgpr_read_b32 v[vgprValuC+122], acc249 // copy acc to vreg[222]
v_accvgpr_read_b32 v[vgprValuC+123], acc253 // copy acc to vreg[223]
v_accvgpr_read_b32 v[vgprValuC+128], acc194 // copy acc to vreg[224]
v_accvgpr_read_b32 v[vgprValuC+129], acc198 // copy acc to vreg[225]
v_accvgpr_read_b32 v[vgprValuC+130], acc202 // copy acc to vreg[226]
v_accvgpr_read_b32 v[vgprValuC+131], acc206 // copy acc to vreg[227]
v_accvgpr_read_b32 v[vgprValuC+132], acc210 // copy acc to vreg[228]
v_accvgpr_read_b32 v[vgprValuC+133], acc214 // copy acc to vreg[229]
v_accvgpr_read_b32 v[vgprValuC+134], acc218 // copy acc to vreg[230]
v_accvgpr_read_b32 v[vgprValuC+135], acc222 // copy acc to vreg[231]
v_accvgpr_read_b32 v[vgprValuC+140], acc226 // copy acc to vreg[232]
v_accvgpr_read_b32 v[vgprValuC+141], acc230 // copy acc to vreg[233]
v_accvgpr_read_b32 v[vgprValuC+142], acc234 // copy acc to vreg[234]
v_accvgpr_read_b32 v[vgprValuC+143], acc238 // copy acc to vreg[235]
v_accvgpr_read_b32 v[vgprValuC+144], acc242 // copy acc to vreg[236]
v_accvgpr_read_b32 v[vgprValuC+145], acc246 // copy acc to vreg[237]
v_accvgpr_read_b32 v[vgprValuC+146], acc250 // copy acc to vreg[238]
v_accvgpr_read_b32 v[vgprValuC+147], acc254 // copy acc to vreg[239]
v_accvgpr_read_b32 v[vgprValuC+152], acc195 // copy acc to vreg[240]
v_accvgpr_read_b32 v[vgprValuC+153], acc199 // copy acc to vreg[241]
v_accvgpr_read_b32 v[vgprValuC+154], acc203 // copy acc to vreg[242]
v_accvgpr_read_b32 v[vgprValuC+155], acc207 // copy acc to vreg[243]
v_accvgpr_read_b32 v[vgprValuC+156], acc211 // copy acc to vreg[244]
v_accvgpr_read_b32 v[vgprValuC+157], acc215 // copy acc to vreg[245]
v_accvgpr_read_b32 v[vgprValuC+158], acc219 // copy acc to vreg[246]
v_accvgpr_read_b32 v[vgprValuC+159], acc223 // copy acc to vreg[247]
v_accvgpr_read_b32 v[vgprValuC+164], acc227 // copy acc to vreg[248]
v_accvgpr_read_b32 v[vgprValuC+165], acc231 // copy acc to vreg[249]
v_accvgpr_read_b32 v[vgprValuC+166], acc235 // copy acc to vreg[250]
v_accvgpr_read_b32 v[vgprValuC+167], acc239 // copy acc to vreg[251]
v_accvgpr_read_b32 v[vgprValuC+168], acc243 // copy acc to vreg[252]
v_accvgpr_read_b32 v[vgprValuC+169], acc247 // copy acc to vreg[253]
v_accvgpr_read_b32 v[vgprValuC+170], acc251 // copy acc to vreg[254]
v_accvgpr_read_b32 v[vgprValuC+171], acc255 // copy acc to vreg[255]
s_nop 1                                            // 2 wait states required before reading vgpr

/* rC *= alpha batchElements=[(2, 2, 1, 0), (2, 3, 1, 0), (2, 0, 2, 0), (2, 1, 2, 0), (2, 2, 2, 0), (2, 3, 2, 0), (2, 0, 3, 0), (2, 1, 3, 0), (2, 2, 3, 0), (2, 3, 3, 0), (3, 0, 0, 0), (3, 1, 0, 0), (3, 2, 0, 0), (3, 3, 0, 0), (3, 0, 1, 0), (3, 1, 1, 0), (3, 2, 1, 0), (3, 3, 1, 0), (3, 0, 2, 0), (3, 1, 2, 0), (3, 2, 2, 0), (3, 3, 2, 0), (3, 0, 3, 0), (3, 1, 3, 0), (3, 2, 3, 0), (3, 3, 3, 0)] */
v_mul_f32 v[vgprValuC+16], s[sgprAlpha], v[vgprValuC+16] // *= alpha
v_mul_f32 v[vgprValuC+17], s[sgprAlpha], v[vgprValuC+17] // *= alpha
v_mul_f32 v[vgprValuC+18], s[sgprAlpha], v[vgprValuC+18] // *= alpha
v_mul_f32 v[vgprValuC+19], s[sgprAlpha], v[vgprValuC+19] // *= alpha
v_mul_f32 v[vgprValuC+20], s[sgprAlpha], v[vgprValuC+20] // *= alpha
v_mul_f32 v[vgprValuC+21], s[sgprAlpha], v[vgprValuC+21] // *= alpha
v_mul_f32 v[vgprValuC+22], s[sgprAlpha], v[vgprValuC+22] // *= alpha
v_mul_f32 v[vgprValuC+23], s[sgprAlpha], v[vgprValuC+23] // *= alpha
v_mul_f32 v[vgprValuC+28], s[sgprAlpha], v[vgprValuC+28] // *= alpha
v_mul_f32 v[vgprValuC+29], s[sgprAlpha], v[vgprValuC+29] // *= alpha
v_mul_f32 v[vgprValuC+30], s[sgprAlpha], v[vgprValuC+30] // *= alpha
v_mul_f32 v[vgprValuC+31], s[sgprAlpha], v[vgprValuC+31] // *= alpha
v_mul_f32 v[vgprValuC+32], s[sgprAlpha], v[vgprValuC+32] // *= alpha
v_mul_f32 v[vgprValuC+33], s[sgprAlpha], v[vgprValuC+33] // *= alpha
v_mul_f32 v[vgprValuC+34], s[sgprAlpha], v[vgprValuC+34] // *= alpha
v_mul_f32 v[vgprValuC+35], s[sgprAlpha], v[vgprValuC+35] // *= alpha
v_mul_f32 v[vgprValuC+40], s[sgprAlpha], v[vgprValuC+40] // *= alpha
v_mul_f32 v[vgprValuC+41], s[sgprAlpha], v[vgprValuC+41] // *= alpha
v_mul_f32 v[vgprValuC+42], s[sgprAlpha], v[vgprValuC+42] // *= alpha
v_mul_f32 v[vgprValuC+43], s[sgprAlpha], v[vgprValuC+43] // *= alpha
v_mul_f32 v[vgprValuC+44], s[sgprAlpha], v[vgprValuC+44] // *= alpha
v_mul_f32 v[vgprValuC+45], s[sgprAlpha], v[vgprValuC+45] // *= alpha
v_mul_f32 v[vgprValuC+46], s[sgprAlpha], v[vgprValuC+46] // *= alpha
v_mul_f32 v[vgprValuC+47], s[sgprAlpha], v[vgprValuC+47] // *= alpha
v_mul_f32 v[vgprValuC+52], s[sgprAlpha], v[vgprValuC+52] // *= alpha
v_mul_f32 v[vgprValuC+53], s[sgprAlpha], v[vgprValuC+53] // *= alpha
v_mul_f32 v[vgprValuC+54], s[sgprAlpha], v[vgprValuC+54] // *= alpha
v_mul_f32 v[vgprValuC+55], s[sgprAlpha], v[vgprValuC+55] // *= alpha
v_mul_f32 v[vgprValuC+56], s[sgprAlpha], v[vgprValuC+56] // *= alpha
v_mul_f32 v[vgprValuC+57], s[sgprAlpha], v[vgprValuC+57] // *= alpha
v_mul_f32 v[vgprValuC+58], s[sgprAlpha], v[vgprValuC+58] // *= alpha
v_mul_f32 v[vgprValuC+59], s[sgprAlpha], v[vgprValuC+59] // *= alpha
v_mul_f32 v[vgprValuC+64], s[sgprAlpha], v[vgprValuC+64] // *= alpha
v_mul_f32 v[vgprValuC+65], s[sgprAlpha], v[vgprValuC+65] // *= alpha
v_mul_f32 v[vgprValuC+66], s[sgprAlpha], v[vgprValuC+66] // *= alpha
v_mul_f32 v[vgprValuC+67], s[sgprAlpha], v[vgprValuC+67] // *= alpha
v_mul_f32 v[vgprValuC+68], s[sgprAlpha], v[vgprValuC+68] // *= alpha
v_mul_f32 v[vgprValuC+69], s[sgprAlpha], v[vgprValuC+69] // *= alpha
v_mul_f32 v[vgprValuC+70], s[sgprAlpha], v[vgprValuC+70] // *= alpha
v_mul_f32 v[vgprValuC+71], s[sgprAlpha], v[vgprValuC+71] // *= alpha
v_mul_f32 v[vgprValuC+76], s[sgprAlpha], v[vgprValuC+76] // *= alpha
v_mul_f32 v[vgprValuC+77], s[sgprAlpha], v[vgprValuC+77] // *= alpha
v_mul_f32 v[vgprValuC+78], s[sgprAlpha], v[vgprValuC+78] // *= alpha
v_mul_f32 v[vgprValuC+79], s[sgprAlpha], v[vgprValuC+79] // *= alpha
v_mul_f32 v[vgprValuC+80], s[sgprAlpha], v[vgprValuC+80] // *= alpha
v_mul_f32 v[vgprValuC+81], s[sgprAlpha], v[vgprValuC+81] // *= alpha
v_mul_f32 v[vgprValuC+82], s[sgprAlpha], v[vgprValuC+82] // *= alpha
v_mul_f32 v[vgprValuC+83], s[sgprAlpha], v[vgprValuC+83] // *= alpha
v_mul_f32 v[vgprValuC+88], s[sgprAlpha], v[vgprValuC+88] // *= alpha
v_mul_f32 v[vgprValuC+89], s[sgprAlpha], v[vgprValuC+89] // *= alpha
v_mul_f32 v[vgprValuC+90], s[sgprAlpha], v[vgprValuC+90] // *= alpha
v_mul_f32 v[vgprValuC+91], s[sgprAlpha], v[vgprValuC+91] // *= alpha
v_mul_f32 v[vgprValuC+92], s[sgprAlpha], v[vgprValuC+92] // *= alpha
v_mul_f32 v[vgprValuC+93], s[sgprAlpha], v[vgprValuC+93] // *= alpha
v_mul_f32 v[vgprValuC+94], s[sgprAlpha], v[vgprValuC+94] // *= alpha
v_mul_f32 v[vgprValuC+95], s[sgprAlpha], v[vgprValuC+95] // *= alpha
v_mul_f32 v[vgprValuC+100], s[sgprAlpha], v[vgprValuC+100] // *= alpha
v_mul_f32 v[vgprValuC+101], s[sgprAlpha], v[vgprValuC+101] // *= alpha
v_mul_f32 v[vgprValuC+102], s[sgprAlpha], v[vgprValuC+102] // *= alpha
v_mul_f32 v[vgprValuC+103], s[sgprAlpha], v[vgprValuC+103] // *= alpha
v_mul_f32 v[vgprValuC+104], s[sgprAlpha], v[vgprValuC+104] // *= alpha
v_mul_f32 v[vgprValuC+105], s[sgprAlpha], v[vgprValuC+105] // *= alpha
v_mul_f32 v[vgprValuC+106], s[sgprAlpha], v[vgprValuC+106] // *= alpha
v_mul_f32 v[vgprValuC+107], s[sgprAlpha], v[vgprValuC+107] // *= alpha
v_mul_f32 v[vgprValuC+112], s[sgprAlpha], v[vgprValuC+112] // *= alpha
v_mul_f32 v[vgprValuC+113], s[sgprAlpha], v[vgprValuC+113] // *= alpha
v_mul_f32 v[vgprValuC+114], s[sgprAlpha], v[vgprValuC+114] // *= alpha
v_mul_f32 v[vgprValuC+115], s[sgprAlpha], v[vgprValuC+115] // *= alpha
v_mul_f32 v[vgprValuC+120], s[sgprAlpha], v[vgprValuC+120] // *= alpha
v_mul_f32 v[vgprValuC+121], s[sgprAlpha], v[vgprValuC+121] // *= alpha
v_mul_f32 v[vgprValuC+122], s[sgprAlpha], v[vgprValuC+122] // *= alpha
v_mul_f32 v[vgprValuC+123], s[sgprAlpha], v[vgprValuC+123] // *= alpha
v_mul_f32 v[vgprValuC+128], s[sgprAlpha], v[vgprValuC+128] // *= alpha
v_mul_f32 v[vgprValuC+129], s[sgprAlpha], v[vgprValuC+129] // *= alpha
v_mul_f32 v[vgprValuC+130], s[sgprAlpha], v[vgprValuC+130] // *= alpha
v_mul_f32 v[vgprValuC+131], s[sgprAlpha], v[vgprValuC+131] // *= alpha
v_mul_f32 v[vgprValuC+132], s[sgprAlpha], v[vgprValuC+132] // *= alpha
v_mul_f32 v[vgprValuC+133], s[sgprAlpha], v[vgprValuC+133] // *= alpha
v_mul_f32 v[vgprValuC+134], s[sgprAlpha], v[vgprValuC+134] // *= alpha
v_mul_f32 v[vgprValuC+135], s[sgprAlpha], v[vgprValuC+135] // *= alpha
v_mul_f32 v[vgprValuC+140], s[sgprAlpha], v[vgprValuC+140] // *= alpha
v_mul_f32 v[vgprValuC+141], s[sgprAlpha], v[vgprValuC+141] // *= alpha
v_mul_f32 v[vgprValuC+142], s[sgprAlpha], v[vgprValuC+142] // *= alpha
v_mul_f32 v[vgprValuC+143], s[sgprAlpha], v[vgprValuC+143] // *= alpha
v_mul_f32 v[vgprValuC+144], s[sgprAlpha], v[vgprValuC+144] // *= alpha
v_mul_f32 v[vgprValuC+145], s[sgprAlpha], v[vgprValuC+145] // *= alpha
v_mul_f32 v[vgprValuC+146], s[sgprAlpha], v[vgprValuC+146] // *= alpha
v_mul_f32 v[vgprValuC+147], s[sgprAlpha], v[vgprValuC+147] // *= alpha
v_mul_f32 v[vgprValuC+152], s[sgprAlpha], v[vgprValuC+152] // *= alpha
v_mul_f32 v[vgprValuC+153], s[sgprAlpha], v[vgprValuC+153] // *= alpha
v_mul_f32 v[vgprValuC+154], s[sgprAlpha], v[vgprValuC+154] // *= alpha
v_mul_f32 v[vgprValuC+155], s[sgprAlpha], v[vgprValuC+155] // *= alpha
v_mul_f32 v[vgprValuC+156], s[sgprAlpha], v[vgprValuC+156] // *= alpha
v_mul_f32 v[vgprValuC+157], s[sgprAlpha], v[vgprValuC+157] // *= alpha
v_mul_f32 v[vgprValuC+158], s[sgprAlpha], v[vgprValuC+158] // *= alpha
v_mul_f32 v[vgprValuC+159], s[sgprAlpha], v[vgprValuC+159] // *= alpha
v_mul_f32 v[vgprValuC+164], s[sgprAlpha], v[vgprValuC+164] // *= alpha
v_mul_f32 v[vgprValuC+165], s[sgprAlpha], v[vgprValuC+165] // *= alpha
v_mul_f32 v[vgprValuC+166], s[sgprAlpha], v[vgprValuC+166] // *= alpha
v_mul_f32 v[vgprValuC+167], s[sgprAlpha], v[vgprValuC+167] // *= alpha
v_mul_f32 v[vgprValuC+168], s[sgprAlpha], v[vgprValuC+168] // *= alpha
v_mul_f32 v[vgprValuC+169], s[sgprAlpha], v[vgprValuC+169] // *= alpha
v_mul_f32 v[vgprValuC+170], s[sgprAlpha], v[vgprValuC+170] // *= alpha
v_mul_f32 v[vgprValuC+171], s[sgprAlpha], v[vgprValuC+171] // *= alpha
s_waitcnt vmcnt(0)                                 // wait C

/* apply mask, calc new C and issue writes */
v_mov_b32 v7, 0xffff0000                           // mask for pack two bfloat16 element to 32bit
v_mov_b32 v8, 0x7fff0000                           // fp32 Nan
v_mov_b32 v9, 0x7fff                               // rounding bias for bfloat16
v_lshlrev_b32 v4, 16, v12                          // convert bf16 to fp32
_v_mac_f32 v[vgprValuC+16], v4, s[sgprBeta]        // finalSum = sum*alpha + C*beta
v_and_b32 v4, v12, v7                              // convert bf16 to fp32
_v_mac_f32 v[vgprValuC+17], v4, s[sgprBeta]        // finalSum = sum*alpha + C*beta
v_lshlrev_b32 v4, 16, v13                          // convert bf16 to fp32
_v_mac_f32 v[vgprValuC+18], v4, s[sgprBeta]        // finalSum = sum*alpha + C*beta
v_and_b32 v4, v13, v7                              // convert bf16 to fp32
_v_mac_f32 v[vgprValuC+19], v4, s[sgprBeta]        // finalSum = sum*alpha + C*beta
v_cmp_u_f32 s[54:55], v[vgprValuC+16], v[vgprValuC+16] // check Nan
v_bfe_u32 v6, v[vgprValuC+16], 16, 1               // Non-Nan case: store lsb of bf16
v_add3_u32 v6, v[vgprValuC+16], v6, v9             // Non-Nan case: add lsb and the increment for rounding
v_cndmask_b32 v[vgprValuC+16], v6, v8, s[54:55]    // 
v_lshrrev_b32 v[vgprValuC+16], 16, v[vgprValuC+16] // convert C to bf16
v_cmp_u_f32 s[54:55], v[vgprValuC+17], v[vgprValuC+17] // check Nan
v_bfe_u32 v6, v[vgprValuC+17], 16, 1               // Non-Nan case: store lsb of bf16
v_add3_u32 v6, v[vgprValuC+17], v6, v9             // Non-Nan case: add lsb and the increment for rounding
v_cndmask_b32 v[vgprValuC+17], v6, v8, s[54:55]    // 
v_and_or_b32 v16, v[vgprValuC+17], v7, v[vgprValuC+16] // pack two bf16 to dword
v_cmp_u_f32 s[54:55], v[vgprValuC+18], v[vgprValuC+18] // check Nan
v_bfe_u32 v6, v[vgprValuC+18], 16, 1               // Non-Nan case: store lsb of bf16
v_add3_u32 v6, v[vgprValuC+18], v6, v9             // Non-Nan case: add lsb and the increment for rounding
v_cndmask_b32 v[vgprValuC+18], v6, v8, s[54:55]    // 
v_lshrrev_b32 v[vgprValuC+18], 16, v[vgprValuC+18] // convert C to bf16
v_cmp_u_f32 s[54:55], v[vgprValuC+19], v[vgprValuC+19] // check Nan
v_bfe_u32 v6, v[vgprValuC+19], 16, 1               // Non-Nan case: store lsb of bf16
v_add3_u32 v6, v[vgprValuC+19], v6, v9             // Non-Nan case: add lsb and the increment for rounding
v_cndmask_b32 v[vgprValuC+19], v6, v8, s[54:55]    // 
v_and_or_b32 v17, v[vgprValuC+19], v7, v[vgprValuC+18] // pack two bf16 to dword
v_lshlrev_b32 v4, 16, v14                          // convert bf16 to fp32
_v_mac_f32 v[vgprValuC+20], v4, s[sgprBeta]        // finalSum = sum*alpha + C*beta
v_and_b32 v4, v14, v7                              // convert bf16 to fp32
_v_mac_f32 v[vgprValuC+21], v4, s[sgprBeta]        // finalSum = sum*alpha + C*beta
v_lshlrev_b32 v4, 16, v15                          // convert bf16 to fp32
_v_mac_f32 v[vgprValuC+22], v4, s[sgprBeta]        // finalSum = sum*alpha + C*beta
v_and_b32 v4, v15, v7                              // convert bf16 to fp32
_v_mac_f32 v[vgprValuC+23], v4, s[sgprBeta]        // finalSum = sum*alpha + C*beta
v_cmp_u_f32 s[54:55], v[vgprValuC+20], v[vgprValuC+20] // check Nan
v_bfe_u32 v6, v[vgprValuC+20], 16, 1               // Non-Nan case: store lsb of bf16
v_add3_u32 v6, v[vgprValuC+20], v6, v9             // Non-Nan case: add lsb and the increment for rounding
v_cndmask_b32 v[vgprValuC+20], v6, v8, s[54:55]    // 
v_lshrrev_b32 v[vgprValuC+20], 16, v[vgprValuC+20] // convert C to bf16
v_cmp_u_f32 s[54:55], v[vgprValuC+21], v[vgprValuC+21] // check Nan
v_bfe_u32 v6, v[vgprValuC+21], 16, 1               // Non-Nan case: store lsb of bf16
v_add3_u32 v6, v[vgprValuC+21], v6, v9             // Non-Nan case: add lsb and the increment for rounding
v_cndmask_b32 v[vgprValuC+21], v6, v8, s[54:55]    // 
v_and_or_b32 v20, v[vgprValuC+21], v7, v[vgprValuC+20] // pack two bf16 to dword
v_cmp_u_f32 s[54:55], v[vgprValuC+22], v[vgprValuC+22] // check Nan
v_bfe_u32 v6, v[vgprValuC+22], 16, 1               // Non-Nan case: store lsb of bf16
v_add3_u32 v6, v[vgprValuC+22], v6, v9             // Non-Nan case: add lsb and the increment for rounding
v_cndmask_b32 v[vgprValuC+22], v6, v8, s[54:55]    // 
v_lshrrev_b32 v[vgprValuC+22], 16, v[vgprValuC+22] // convert C to bf16
v_cmp_u_f32 s[54:55], v[vgprValuC+23], v[vgprValuC+23] // check Nan
v_bfe_u32 v6, v[vgprValuC+23], 16, 1               // Non-Nan case: store lsb of bf16
v_add3_u32 v6, v[vgprValuC+23], v6, v9             // Non-Nan case: add lsb and the increment for rounding
v_cndmask_b32 v[vgprValuC+23], v6, v8, s[54:55]    // 
v_and_or_b32 v21, v[vgprValuC+23], v7, v[vgprValuC+22] // pack two bf16 to dword
	;; [unrolled: 28-line block ×14, first 2 shown]
v_lshlrev_b32 v4, 16, v96                          // convert bf16 to fp32
_v_mac_f32 v[vgprValuC+100], v4, s[sgprBeta]       // finalSum = sum*alpha + C*beta
v_and_b32 v4, v96, v7                              // convert bf16 to fp32
_v_mac_f32 v[vgprValuC+101], v4, s[sgprBeta]       // finalSum = sum*alpha + C*beta
v_lshlrev_b32 v4, 16, v97                          // convert bf16 to fp32
_v_mac_f32 v[vgprValuC+102], v4, s[sgprBeta]       // finalSum = sum*alpha + C*beta
v_and_b32 v4, v97, v7                              // convert bf16 to fp32
_v_mac_f32 v[vgprValuC+103], v4, s[sgprBeta]       // finalSum = sum*alpha + C*beta
v_cmp_u_f32 s[54:55], v[vgprValuC+100], v[vgprValuC+100] // check Nan
v_bfe_u32 v6, v[vgprValuC+100], 16, 1              // Non-Nan case: store lsb of bf16
v_add3_u32 v6, v[vgprValuC+100], v6, v9            // Non-Nan case: add lsb and the increment for rounding
v_cndmask_b32 v[vgprValuC+100], v6, v8, s[54:55]   // 
v_lshrrev_b32 v[vgprValuC+100], 16, v[vgprValuC+100] // convert C to bf16
v_cmp_u_f32 s[54:55], v[vgprValuC+101], v[vgprValuC+101] // check Nan
v_bfe_u32 v6, v[vgprValuC+101], 16, 1              // Non-Nan case: store lsb of bf16
v_add3_u32 v6, v[vgprValuC+101], v6, v9            // Non-Nan case: add lsb and the increment for rounding
v_cndmask_b32 v[vgprValuC+101], v6, v8, s[54:55]   // 
v_and_or_b32 v100, v[vgprValuC+101], v7, v[vgprValuC+100] // pack two bf16 to dword
v_cmp_u_f32 s[54:55], v[vgprValuC+102], v[vgprValuC+102] // check Nan
v_bfe_u32 v6, v[vgprValuC+102], 16, 1              // Non-Nan case: store lsb of bf16
v_add3_u32 v6, v[vgprValuC+102], v6, v9            // Non-Nan case: add lsb and the increment for rounding
v_cndmask_b32 v[vgprValuC+102], v6, v8, s[54:55]   // 
v_lshrrev_b32 v[vgprValuC+102], 16, v[vgprValuC+102] // convert C to bf16
v_cmp_u_f32 s[54:55], v[vgprValuC+103], v[vgprValuC+103] // check Nan
v_bfe_u32 v6, v[vgprValuC+103], 16, 1              // Non-Nan case: store lsb of bf16
v_add3_u32 v6, v[vgprValuC+103], v6, v9            // Non-Nan case: add lsb and the increment for rounding
v_cndmask_b32 v[vgprValuC+103], v6, v8, s[54:55]   // 
v_and_or_b32 v101, v[vgprValuC+103], v7, v[vgprValuC+102] // pack two bf16 to dword
v_lshlrev_b32 v4, 16, v98                          // convert bf16 to fp32
_v_mac_f32 v[vgprValuC+104], v4, s[sgprBeta]       // finalSum = sum*alpha + C*beta
v_and_b32 v4, v98, v7                              // convert bf16 to fp32
_v_mac_f32 v[vgprValuC+105], v4, s[sgprBeta]       // finalSum = sum*alpha + C*beta
v_lshlrev_b32 v4, 16, v99                          // convert bf16 to fp32
_v_mac_f32 v[vgprValuC+106], v4, s[sgprBeta]       // finalSum = sum*alpha + C*beta
v_and_b32 v4, v99, v7                              // convert bf16 to fp32
_v_mac_f32 v[vgprValuC+107], v4, s[sgprBeta]       // finalSum = sum*alpha + C*beta
v_cmp_u_f32 s[54:55], v[vgprValuC+104], v[vgprValuC+104] // check Nan
v_bfe_u32 v6, v[vgprValuC+104], 16, 1              // Non-Nan case: store lsb of bf16
v_add3_u32 v6, v[vgprValuC+104], v6, v9            // Non-Nan case: add lsb and the increment for rounding
v_cndmask_b32 v[vgprValuC+104], v6, v8, s[54:55]   // 
v_lshrrev_b32 v[vgprValuC+104], 16, v[vgprValuC+104] // convert C to bf16
v_cmp_u_f32 s[54:55], v[vgprValuC+105], v[vgprValuC+105] // check Nan
v_bfe_u32 v6, v[vgprValuC+105], 16, 1              // Non-Nan case: store lsb of bf16
v_add3_u32 v6, v[vgprValuC+105], v6, v9            // Non-Nan case: add lsb and the increment for rounding
v_cndmask_b32 v[vgprValuC+105], v6, v8, s[54:55]   // 
v_and_or_b32 v104, v[vgprValuC+105], v7, v[vgprValuC+104] // pack two bf16 to dword
v_cmp_u_f32 s[54:55], v[vgprValuC+106], v[vgprValuC+106] // check Nan
v_bfe_u32 v6, v[vgprValuC+106], 16, 1              // Non-Nan case: store lsb of bf16
v_add3_u32 v6, v[vgprValuC+106], v6, v9            // Non-Nan case: add lsb and the increment for rounding
v_cndmask_b32 v[vgprValuC+106], v6, v8, s[54:55]   // 
v_lshrrev_b32 v[vgprValuC+106], 16, v[vgprValuC+106] // convert C to bf16
v_cmp_u_f32 s[54:55], v[vgprValuC+107], v[vgprValuC+107] // check Nan
v_bfe_u32 v6, v[vgprValuC+107], 16, 1              // Non-Nan case: store lsb of bf16
v_add3_u32 v6, v[vgprValuC+107], v6, v9            // Non-Nan case: add lsb and the increment for rounding
v_cndmask_b32 v[vgprValuC+107], v6, v8, s[54:55]   // 
v_and_or_b32 v105, v[vgprValuC+107], v7, v[vgprValuC+106] // pack two bf16 to dword
v_lshlrev_b32 v4, 16, v108                         // convert bf16 to fp32
_v_mac_f32 v[vgprValuC+112], v4, s[sgprBeta]       // finalSum = sum*alpha + C*beta
v_and_b32 v4, v108, v7                             // convert bf16 to fp32
_v_mac_f32 v[vgprValuC+113], v4, s[sgprBeta]       // finalSum = sum*alpha + C*beta
v_lshlrev_b32 v4, 16, v109                         // convert bf16 to fp32
_v_mac_f32 v[vgprValuC+114], v4, s[sgprBeta]       // finalSum = sum*alpha + C*beta
v_and_b32 v4, v109, v7                             // convert bf16 to fp32
_v_mac_f32 v[vgprValuC+115], v4, s[sgprBeta]       // finalSum = sum*alpha + C*beta
v_cmp_u_f32 s[54:55], v[vgprValuC+112], v[vgprValuC+112] // check Nan
v_bfe_u32 v6, v[vgprValuC+112], 16, 1              // Non-Nan case: store lsb of bf16
v_add3_u32 v6, v[vgprValuC+112], v6, v9            // Non-Nan case: add lsb and the increment for rounding
v_cndmask_b32 v[vgprValuC+112], v6, v8, s[54:55]   // 
v_lshrrev_b32 v[vgprValuC+112], 16, v[vgprValuC+112] // convert C to bf16
v_cmp_u_f32 s[54:55], v[vgprValuC+113], v[vgprValuC+113] // check Nan
v_bfe_u32 v6, v[vgprValuC+113], 16, 1              // Non-Nan case: store lsb of bf16
v_add3_u32 v6, v[vgprValuC+113], v6, v9            // Non-Nan case: add lsb and the increment for rounding
v_cndmask_b32 v[vgprValuC+113], v6, v8, s[54:55]   // 
v_and_or_b32 v112, v[vgprValuC+113], v7, v[vgprValuC+112] // pack two bf16 to dword
v_cmp_u_f32 s[54:55], v[vgprValuC+114], v[vgprValuC+114] // check Nan
v_bfe_u32 v6, v[vgprValuC+114], 16, 1              // Non-Nan case: store lsb of bf16
v_add3_u32 v6, v[vgprValuC+114], v6, v9            // Non-Nan case: add lsb and the increment for rounding
v_cndmask_b32 v[vgprValuC+114], v6, v8, s[54:55]   // 
v_lshrrev_b32 v[vgprValuC+114], 16, v[vgprValuC+114] // convert C to bf16
v_cmp_u_f32 s[54:55], v[vgprValuC+115], v[vgprValuC+115] // check Nan
v_bfe_u32 v6, v[vgprValuC+115], 16, 1              // Non-Nan case: store lsb of bf16
v_add3_u32 v6, v[vgprValuC+115], v6, v9            // Non-Nan case: add lsb and the increment for rounding
v_cndmask_b32 v[vgprValuC+115], v6, v8, s[54:55]   // 
v_and_or_b32 v113, v[vgprValuC+115], v7, v[vgprValuC+114] // pack two bf16 to dword
v_lshlrev_b32 v4, 16, v110                         // convert bf16 to fp32
_v_mac_f32 v[vgprValuC+120], v4, s[sgprBeta]       // finalSum = sum*alpha + C*beta
v_and_b32 v4, v110, v7                             // convert bf16 to fp32
_v_mac_f32 v[vgprValuC+121], v4, s[sgprBeta]       // finalSum = sum*alpha + C*beta
v_lshlrev_b32 v4, 16, v111                         // convert bf16 to fp32
_v_mac_f32 v[vgprValuC+122], v4, s[sgprBeta]       // finalSum = sum*alpha + C*beta
v_and_b32 v4, v111, v7                             // convert bf16 to fp32
	;; [unrolled: 28-line block ×10, first 2 shown]
_v_mac_f32 v[vgprValuC+171], v4, s[sgprBeta]       // finalSum = sum*alpha + C*beta
v_cmp_u_f32 s[54:55], v[vgprValuC+168], v[vgprValuC+168] // check Nan
v_bfe_u32 v6, v[vgprValuC+168], 16, 1              // Non-Nan case: store lsb of bf16
v_add3_u32 v6, v[vgprValuC+168], v6, v9            // Non-Nan case: add lsb and the increment for rounding
v_cndmask_b32 v[vgprValuC+168], v6, v8, s[54:55]   // 
v_lshrrev_b32 v[vgprValuC+168], 16, v[vgprValuC+168] // convert C to bf16
v_cmp_u_f32 s[54:55], v[vgprValuC+169], v[vgprValuC+169] // check Nan
v_bfe_u32 v6, v[vgprValuC+169], 16, 1              // Non-Nan case: store lsb of bf16
v_add3_u32 v6, v[vgprValuC+169], v6, v9            // Non-Nan case: add lsb and the increment for rounding
v_cndmask_b32 v[vgprValuC+169], v6, v8, s[54:55]   // 
v_and_or_b32 v168, v[vgprValuC+169], v7, v[vgprValuC+168] // pack two bf16 to dword
v_cmp_u_f32 s[54:55], v[vgprValuC+170], v[vgprValuC+170] // check Nan
v_bfe_u32 v6, v[vgprValuC+170], 16, 1              // Non-Nan case: store lsb of bf16
v_add3_u32 v6, v[vgprValuC+170], v6, v9            // Non-Nan case: add lsb and the increment for rounding
v_cndmask_b32 v[vgprValuC+170], v6, v8, s[54:55]   // 
v_lshrrev_b32 v[vgprValuC+170], 16, v[vgprValuC+170] // convert C to bf16
v_cmp_u_f32 s[54:55], v[vgprValuC+171], v[vgprValuC+171] // check Nan
v_bfe_u32 v6, v[vgprValuC+171], 16, 1              // Non-Nan case: store lsb of bf16
v_add3_u32 v6, v[vgprValuC+171], v6, v9            // Non-Nan case: add lsb and the increment for rounding
v_cndmask_b32 v[vgprValuC+171], v6, v8, s[54:55]   // 
v_and_or_b32 v169, v[vgprValuC+171], v7, v[vgprValuC+170] // pack two bf16 to dword
_buffer_store_b64 v[16:17], v10, s[sgprSrdD:sgprSrdD+3], 0, offen, offset:256,  sc0 sc1 // store D
_buffer_store_b64 v[20:21], v10, s[sgprSrdD:sgprSrdD+3], 0, offen, offset:384,  sc0 sc1 // store D
s_lshl_b32  s54, s[sgprStrideD1J], 1               // incToNextRow: Scale by BPE
s_add_u32  s[sgprSrdD+0], s[sgprSrdD+0], s54       // incToNextRow: gra SRD += inc(lower)
s_addc_u32  s[sgprSrdD+1], s[sgprSrdD+1], 0        // incToNextRow: gra SRD += inc(upper)
_buffer_store_b64 v[28:29], v10, s[sgprSrdD:sgprSrdD+3], 0, offen, offset:0,  sc0 sc1 // store D
_buffer_store_b64 v[32:33], v10, s[sgprSrdD:sgprSrdD+3], 0, offen, offset:128,  sc0 sc1 // store D
	;; [unrolled: 1-line block ×4, first 2 shown]
s_lshl_b32  s54, s[sgprStrideD1J], 1               // incToNextRow: Scale by BPE
s_add_u32  s[sgprSrdD+0], s[sgprSrdD+0], s54       // incToNextRow: gra SRD += inc(lower)
s_addc_u32  s[sgprSrdD+1], s[sgprSrdD+1], 0        // incToNextRow: gra SRD += inc(upper)
_buffer_store_b64 v[52:53], v10, s[sgprSrdD:sgprSrdD+3], 0, offen, offset:0,  sc0 sc1 // store D
_buffer_store_b64 v[56:57], v10, s[sgprSrdD:sgprSrdD+3], 0, offen, offset:128,  sc0 sc1 // store D
	;; [unrolled: 1-line block ×4, first 2 shown]
s_mul_i32 s54, s[sgprStrideD1J], 122               // scale StrideD *= numRows(61) * bpe
s_add_u32  s[sgprSrdD+0], s[sgprSrdD+0], s54       // incToNextRow: gra SRD += inc(lower)
s_addc_u32  s[sgprSrdD+1], s[sgprSrdD+1], 0        // incToNextRow: gra SRD += inc(upper)
_buffer_store_b64 v[76:77], v10, s[sgprSrdD:sgprSrdD+3], 0, offen, offset:0,  sc0 sc1 // store D
_buffer_store_b64 v[80:81], v10, s[sgprSrdD:sgprSrdD+3], 0, offen, offset:128,  sc0 sc1 // store D
_buffer_store_b64 v[88:89], v10, s[sgprSrdD:sgprSrdD+3], 0, offen, offset:256,  sc0 sc1 // store D
_buffer_store_b64 v[92:93], v10, s[sgprSrdD:sgprSrdD+3], 0, offen, offset:384,  sc0 sc1 // store D
s_lshl_b32  s54, s[sgprStrideD1J], 1               // incToNextRow: Scale by BPE
s_add_u32  s[sgprSrdD+0], s[sgprSrdD+0], s54       // incToNextRow: gra SRD += inc(lower)
s_addc_u32  s[sgprSrdD+1], s[sgprSrdD+1], 0        // incToNextRow: gra SRD += inc(upper)
_buffer_store_b64 v[100:101], v10, s[sgprSrdD:sgprSrdD+3], 0, offen, offset:0,  sc0 sc1 // store D
_buffer_store_b64 v[104:105], v10, s[sgprSrdD:sgprSrdD+3], 0, offen, offset:128,  sc0 sc1 // store D
_buffer_store_b64 v[112:113], v10, s[sgprSrdD:sgprSrdD+3], 0, offen, offset:256,  sc0 sc1 // store D
_buffer_store_b64 v[120:121], v10, s[sgprSrdD:sgprSrdD+3], 0, offen, offset:384,  sc0 sc1 // store D
s_lshl_b32  s54, s[sgprStrideD1J], 1               // incToNextRow: Scale by BPE
	;; [unrolled: 7-line block ×3, first 2 shown]
s_add_u32  s[sgprSrdD+0], s[sgprSrdD+0], s54       // incToNextRow: gra SRD += inc(lower)
s_addc_u32  s[sgprSrdD+1], s[sgprSrdD+1], 0        // incToNextRow: gra SRD += inc(upper)
_buffer_store_b64 v[152:153], v10, s[sgprSrdD:sgprSrdD+3], 0, offen, offset:0,  sc0 sc1 // store D
_buffer_store_b64 v[156:157], v10, s[sgprSrdD:sgprSrdD+3], 0, offen, offset:128,  sc0 sc1 // store D
	;; [unrolled: 1-line block ×4, first 2 shown]
s_nop 0                                            // 1 wait state required when next inst writes vgprs held by previous dwordx4 store inst
s_branch label_GW_End_44                           // jump to end
GW_B1_E1_43:

/* edge=1, allocate 6 sgpr. perBatchTmpS=4 perBatchMaskS=2 perElementMaskS=0 elementsPerBatch=60 */
/* optSingleColVgpr=0 optSharedColVgpr=0 optSGPRUsage=BufferLoad_Edge_Mask optSrdIncForRow=0 */
s_sleep 5 // optimization: sync and wait
s_barrier

/******************************************/
/* Global Write Alpha Beta Edge Batch #0 (d1,d0,vc1,vc0) = */
/*    (0,0,0,0:vw1); (0,0,0,1:vw1); (0,0,0,2:vw1); (0,0,0,3:vw1); (0,1,0,0:vw1); (0,1,0,1:vw1); (0,1,0,2:vw1); (0,1,0,3:vw1); (0,2,0,0:vw1); (0,2,0,1:vw1); (0,2,0,2:vw1); (0,2,0,3:vw1); (0,3,0,0:vw1); (0,3,0,1:vw1); (0,3,0,2:vw1); (0,3,0,3:vw1); (0,0,1,0:vw1); (0,0,1,1:vw1); (0,0,1,2:vw1); (0,0,1,3:vw1); (0,1,1,0:vw1); (0,1,1,1:vw1); (0,1,1,2:vw1); (0,1,1,3:vw1); (0,2,1,0:vw1); (0,2,1,1:vw1); (0,2,1,2:vw1); (0,2,1,3:vw1); (0,3,1,0:vw1); (0,3,1,1:vw1); (0,3,1,2:vw1); (0,3,1,3:vw1); (0,0,2,0:vw1); (0,0,2,1:vw1); (0,0,2,2:vw1); (0,0,2,3:vw1); (0,1,2,0:vw1); (0,1,2,1:vw1); (0,1,2,2:vw1); (0,1,2,3:vw1); (0,2,2,0:vw1); (0,2,2,1:vw1); (0,2,2,2:vw1); (0,2,2,3:vw1); (0,3,2,0:vw1); (0,3,2,1:vw1); (0,3,2,2:vw1); (0,3,2,3:vw1); (0,0,3,0:vw1); (0,0,3,1:vw1); (0,0,3,2:vw1); (0,0,3,3:vw1); (0,1,3,0:vw1); (0,1,3,1:vw1); (0,1,3,2:vw1); (0,1,3,3:vw1); (0,2,3,0:vw1); (0,2,3,1:vw1); (0,2,3,2:vw1); (0,2,3,3:vw1) */
/******************************************/

/* calc coords, apply mask, and issue loads (if necessary) */
/* (d1,vc1,d0,vc0)=(0,0,0,0) */
v_cmp_lt_u32 s[54:55], v0, s[sgprSizeI]            // coord0 < size0
v_cmp_lt_u32 s[58:59], v1, s[sgprSizeJ]            // coord1 < size1
s_and_b64 s[58:59], s[54:55], s[58:59]             // in0 && in1
_v_add_lshl_u32 v11, v2, v0, 0x1                   // scaleToBpe: accumulate d0 lower and *= bpe into Cin addr
v_cndmask_b32 v11, -1, v11, s[58:59]               // LDC clip if OOB. offset
_v_add_lshl_u32 v10, v3, v0, 0x1                   // scaleToBpe: accumulate d0 lower and *= bpe into Cin addr
v_cndmask_b32 v10, -1, v10, s[58:59]               // LDD clip if OOB. offset
/* (d1,vc1,d0,vc0)=(0,0,0,1) */
_v_add_co_u32 v4, vcc, v0, 1                       // coord0.1: coord0 += d0*sg0*VW + vc0
v_cmp_lt_u32 s[54:55], v4, s[sgprSizeI]            // coord0 < size0
v_cmp_lt_u32 s[58:59], v1, s[sgprSizeJ]            // coord1 < size1
s_and_b64 s[58:59], s[54:55], s[58:59]             // in0 && in1
_v_add_lshl_u32 v15, v2, v4, 0x1                   // scaleToBpe: accumulate d0 lower and *= bpe into Cin addr
v_cndmask_b32 v15, -1, v15, s[58:59]               // LDC clip if OOB. offset
_v_add_lshl_u32 v14, v3, v4, 0x1                   // scaleToBpe: accumulate d0 lower and *= bpe into Cin addr
v_cndmask_b32 v14, -1, v14, s[58:59]               // LDD clip if OOB. offset
/* (d1,vc1,d0,vc0)=(0,0,0,2) */
_v_add_co_u32 v4, vcc, v0, 2                       // coord0.1: coord0 += d0*sg0*VW + vc0
	;; [unrolled: 9-line block ×3, first 2 shown]
v_cmp_lt_u32 s[54:55], v4, s[sgprSizeI]            // coord0 < size0
v_cmp_lt_u32 s[58:59], v1, s[sgprSizeJ]            // coord1 < size1
s_and_b64 s[58:59], s[54:55], s[58:59]             // in0 && in1
_v_add_lshl_u32 v23, v2, v4, 0x1                   // scaleToBpe: accumulate d0 lower and *= bpe into Cin addr
v_cndmask_b32 v23, -1, v23, s[58:59]               // LDC clip if OOB. offset
_v_add_lshl_u32 v22, v3, v4, 0x1                   // scaleToBpe: accumulate d0 lower and *= bpe into Cin addr
v_cndmask_b32 v22, -1, v22, s[58:59]               // LDD clip if OOB. offset
/* (d1,vc1,d0,vc0)=(0,0,1,0) */
_v_add_co_u32 v4, vcc, v0, 64                      // coord0.1: coord0 += d0*sg0*VW + vc0
v_cmp_lt_u32 s[54:55], v4, s[sgprSizeI]            // coord0 < size0
v_cmp_lt_u32 s[58:59], v1, s[sgprSizeJ]            // coord1 < size1
s_and_b64 s[58:59], s[54:55], s[58:59]             // in0 && in1
_v_add_lshl_u32 v27, v2, v4, 0x1                   // scaleToBpe: accumulate d0 lower and *= bpe into Cin addr
v_cndmask_b32 v27, -1, v27, s[58:59]               // LDC clip if OOB. offset
_v_add_lshl_u32 v26, v3, v4, 0x1                   // scaleToBpe: accumulate d0 lower and *= bpe into Cin addr
v_cndmask_b32 v26, -1, v26, s[58:59]               // LDD clip if OOB. offset
/* (d1,vc1,d0,vc0)=(0,0,1,1) */
s_mov_b32 s54, 65                                  // coordOffset0 d0=1 vc0=1
_v_add_co_u32 v4, vcc, v0, s54                     // coord0.2: coord0 += d0*sg0*VW + vc0
v_cmp_lt_u32 s[54:55], v4, s[sgprSizeI]            // coord0 < size0
v_cmp_lt_u32 s[58:59], v1, s[sgprSizeJ]            // coord1 < size1
s_and_b64 s[58:59], s[54:55], s[58:59]             // in0 && in1
_v_add_lshl_u32 v31, v2, v4, 0x1                   // scaleToBpe: accumulate d0 lower and *= bpe into Cin addr
v_cndmask_b32 v31, -1, v31, s[58:59]               // LDC clip if OOB. offset
_v_add_lshl_u32 v30, v3, v4, 0x1                   // scaleToBpe: accumulate d0 lower and *= bpe into Cin addr
v_cndmask_b32 v30, -1, v30, s[58:59]               // LDD clip if OOB. offset
/* (d1,vc1,d0,vc0)=(0,0,1,2) */
s_mov_b32 s54, 66                                  // coordOffset0 d0=1 vc0=2
_v_add_co_u32 v4, vcc, v0, s54                     // coord0.2: coord0 += d0*sg0*VW + vc0
	;; [unrolled: 10-line block ×3, first 2 shown]
v_cmp_lt_u32 s[54:55], v4, s[sgprSizeI]            // coord0 < size0
v_cmp_lt_u32 s[58:59], v1, s[sgprSizeJ]            // coord1 < size1
s_and_b64 s[58:59], s[54:55], s[58:59]             // in0 && in1
_v_add_lshl_u32 v39, v2, v4, 0x1                   // scaleToBpe: accumulate d0 lower and *= bpe into Cin addr
v_cndmask_b32 v39, -1, v39, s[58:59]               // LDC clip if OOB. offset
_v_add_lshl_u32 v38, v3, v4, 0x1                   // scaleToBpe: accumulate d0 lower and *= bpe into Cin addr
v_cndmask_b32 v38, -1, v38, s[58:59]               // LDD clip if OOB. offset
/* (d1,vc1,d0,vc0)=(0,0,2,0) */
s_mov_b32 s54, 128                                 // coordOffset0 d0=2 vc0=0
_v_add_co_u32 v4, vcc, v0, s54                     // coord0.2: coord0 += d0*sg0*VW + vc0
v_cmp_lt_u32 s[54:55], v4, s[sgprSizeI]            // coord0 < size0
v_cmp_lt_u32 s[58:59], v1, s[sgprSizeJ]            // coord1 < size1
s_and_b64 s[58:59], s[54:55], s[58:59]             // in0 && in1
_v_add_lshl_u32 v43, v2, v4, 0x1                   // scaleToBpe: accumulate d0 lower and *= bpe into Cin addr
v_cndmask_b32 v43, -1, v43, s[58:59]               // LDC clip if OOB. offset
_v_add_lshl_u32 v42, v3, v4, 0x1                   // scaleToBpe: accumulate d0 lower and *= bpe into Cin addr
v_cndmask_b32 v42, -1, v42, s[58:59]               // LDD clip if OOB. offset
/* (d1,vc1,d0,vc0)=(0,0,2,1) */
s_mov_b32 s54, 129                                 // coordOffset0 d0=2 vc0=1
_v_add_co_u32 v4, vcc, v0, s54                     // coord0.2: coord0 += d0*sg0*VW + vc0
	;; [unrolled: 10-line block ×8, first 2 shown]
v_cmp_lt_u32 s[54:55], v4, s[sgprSizeI]            // coord0 < size0
v_cmp_lt_u32 s[58:59], v1, s[sgprSizeJ]            // coord1 < size1
s_and_b64 s[58:59], s[54:55], s[58:59]             // in0 && in1
_v_add_lshl_u32 v71, v2, v4, 0x1                   // scaleToBpe: accumulate d0 lower and *= bpe into Cin addr
v_cndmask_b32 v71, -1, v71, s[58:59]               // LDC clip if OOB. offset
_v_add_lshl_u32 v70, v3, v4, 0x1                   // scaleToBpe: accumulate d0 lower and *= bpe into Cin addr
v_cndmask_b32 v70, -1, v70, s[58:59]               // LDD clip if OOB. offset
/* (d1,vc1,d0,vc0)=(0,1,0,0) */
_v_add_co_u32 v1, vcc, v1, 1                       // coord1.1: coord1Vgpr += d1*sg1*VW + vc1

/* Fix for UseInitialStridesCD, emitAddressSetupCode */
_v_add_u32 v2, v2, s[sgprStrideC1J]                // ROWINC- Move cinRowPtr to next row
_v_add_u32 v3, v3, s[sgprStrideD1J]                // Move coutRowPtr to next row
v_cmp_lt_u32 s[54:55], v0, s[sgprSizeI]            // coord0 < size0
v_cmp_lt_u32 s[58:59], v1, s[sgprSizeJ]            // coord1 < size1
s_and_b64 s[58:59], s[54:55], s[58:59]             // in0 && in1
_v_add_lshl_u32 v75, v2, v0, 0x1                   // scaleToBpe: accumulate d0 lower and *= bpe into Cin addr
v_cndmask_b32 v75, -1, v75, s[58:59]               // LDC clip if OOB. offset
_v_add_lshl_u32 v74, v3, v0, 0x1                   // scaleToBpe: accumulate d0 lower and *= bpe into Cin addr
v_cndmask_b32 v74, -1, v74, s[58:59]               // LDD clip if OOB. offset
/* (d1,vc1,d0,vc0)=(0,1,0,1) */
_v_add_co_u32 v4, vcc, v0, 1                       // coord0.1: coord0 += d0*sg0*VW + vc0
v_cmp_lt_u32 s[54:55], v4, s[sgprSizeI]            // coord0 < size0
v_cmp_lt_u32 s[58:59], v1, s[sgprSizeJ]            // coord1 < size1
s_and_b64 s[58:59], s[54:55], s[58:59]             // in0 && in1
_v_add_lshl_u32 v79, v2, v4, 0x1                   // scaleToBpe: accumulate d0 lower and *= bpe into Cin addr
v_cndmask_b32 v79, -1, v79, s[58:59]               // LDC clip if OOB. offset
_v_add_lshl_u32 v78, v3, v4, 0x1                   // scaleToBpe: accumulate d0 lower and *= bpe into Cin addr
v_cndmask_b32 v78, -1, v78, s[58:59]               // LDD clip if OOB. offset
/* (d1,vc1,d0,vc0)=(0,1,0,2) */
_v_add_co_u32 v4, vcc, v0, 2                       // coord0.1: coord0 += d0*sg0*VW + vc0
	;; [unrolled: 9-line block ×3, first 2 shown]
v_cmp_lt_u32 s[54:55], v4, s[sgprSizeI]            // coord0 < size0
v_cmp_lt_u32 s[58:59], v1, s[sgprSizeJ]            // coord1 < size1
s_and_b64 s[58:59], s[54:55], s[58:59]             // in0 && in1
_v_add_lshl_u32 v87, v2, v4, 0x1                   // scaleToBpe: accumulate d0 lower and *= bpe into Cin addr
v_cndmask_b32 v87, -1, v87, s[58:59]               // LDC clip if OOB. offset
_v_add_lshl_u32 v86, v3, v4, 0x1                   // scaleToBpe: accumulate d0 lower and *= bpe into Cin addr
v_cndmask_b32 v86, -1, v86, s[58:59]               // LDD clip if OOB. offset
/* (d1,vc1,d0,vc0)=(0,1,1,0) */
_v_add_co_u32 v4, vcc, v0, 64                      // coord0.1: coord0 += d0*sg0*VW + vc0
v_cmp_lt_u32 s[54:55], v4, s[sgprSizeI]            // coord0 < size0
v_cmp_lt_u32 s[58:59], v1, s[sgprSizeJ]            // coord1 < size1
s_and_b64 s[58:59], s[54:55], s[58:59]             // in0 && in1
_v_add_lshl_u32 v91, v2, v4, 0x1                   // scaleToBpe: accumulate d0 lower and *= bpe into Cin addr
v_cndmask_b32 v91, -1, v91, s[58:59]               // LDC clip if OOB. offset
_v_add_lshl_u32 v90, v3, v4, 0x1                   // scaleToBpe: accumulate d0 lower and *= bpe into Cin addr
v_cndmask_b32 v90, -1, v90, s[58:59]               // LDD clip if OOB. offset
/* (d1,vc1,d0,vc0)=(0,1,1,1) */
s_mov_b32 s54, 65                                  // coordOffset0 d0=1 vc0=1
_v_add_co_u32 v4, vcc, v0, s54                     // coord0.2: coord0 += d0*sg0*VW + vc0
v_cmp_lt_u32 s[54:55], v4, s[sgprSizeI]            // coord0 < size0
v_cmp_lt_u32 s[58:59], v1, s[sgprSizeJ]            // coord1 < size1
s_and_b64 s[58:59], s[54:55], s[58:59]             // in0 && in1
_v_add_lshl_u32 v95, v2, v4, 0x1                   // scaleToBpe: accumulate d0 lower and *= bpe into Cin addr
v_cndmask_b32 v95, -1, v95, s[58:59]               // LDC clip if OOB. offset
_v_add_lshl_u32 v94, v3, v4, 0x1                   // scaleToBpe: accumulate d0 lower and *= bpe into Cin addr
v_cndmask_b32 v94, -1, v94, s[58:59]               // LDD clip if OOB. offset
/* (d1,vc1,d0,vc0)=(0,1,1,2) */
s_mov_b32 s54, 66                                  // coordOffset0 d0=1 vc0=2
_v_add_co_u32 v4, vcc, v0, s54                     // coord0.2: coord0 += d0*sg0*VW + vc0
v_cmp_lt_u32 s[54:55], v4, s[sgprSizeI]            // coord0 < size0
v_cmp_lt_u32 s[58:59], v1, s[sgprSizeJ]            // coord1 < size1
s_and_b64 s[58:59], s[54:55], s[58:59]             // in0 && in1
_v_add_lshl_u32 v99, v2, v4, 0x1                   // scaleToBpe: accumulate d0 lower and *= bpe into Cin addr
v_cndmask_b32 v99, -1, v99, s[58:59]               // LDC clip if OOB. offset
_v_add_lshl_u32 v98, v3, v4, 0x1                   // scaleToBpe: accumulate d0 lower and *= bpe into Cin addr
v_cndmask_b32 v98, -1, v98, s[58:59]               // LDD clip if OOB. offset
/* (d1,vc1,d0,vc0)=(0,1,1,3) */
s_mov_b32 s54, 67                                  // coordOffset0 d0=1 vc0=3
_v_add_co_u32 v4, vcc, v0, s54                     // coord0.2: coord0 += d0*sg0*VW + vc0
v_cmp_lt_u32 s[54:55], v4, s[sgprSizeI]            // coord0 < size0
v_cmp_lt_u32 s[58:59], v1, s[sgprSizeJ]            // coord1 < size1
s_and_b64 s[58:59], s[54:55], s[58:59]             // in0 && in1
_v_add_lshl_u32 v103, v2, v4, 0x1                  // scaleToBpe: accumulate d0 lower and *= bpe into Cin addr
v_cndmask_b32 v103, -1, v103, s[58:59]             // LDC clip if OOB. offset
_v_add_lshl_u32 v102, v3, v4, 0x1                  // scaleToBpe: accumulate d0 lower and *= bpe into Cin addr
v_cndmask_b32 v102, -1, v102, s[58:59]             // LDD clip if OOB. offset
/* (d1,vc1,d0,vc0)=(0,1,2,0) */
s_mov_b32 s54, 128                                 // coordOffset0 d0=2 vc0=0
_v_add_co_u32 v4, vcc, v0, s54                     // coord0.2: coord0 += d0*sg0*VW + vc0
v_cmp_lt_u32 s[54:55], v4, s[sgprSizeI]            // coord0 < size0
v_cmp_lt_u32 s[58:59], v1, s[sgprSizeJ]            // coord1 < size1
s_and_b64 s[58:59], s[54:55], s[58:59]             // in0 && in1
_v_add_lshl_u32 v107, v2, v4, 0x1                  // scaleToBpe: accumulate d0 lower and *= bpe into Cin addr
v_cndmask_b32 v107, -1, v107, s[58:59]             // LDC clip if OOB. offset
_v_add_lshl_u32 v106, v3, v4, 0x1                  // scaleToBpe: accumulate d0 lower and *= bpe into Cin addr
v_cndmask_b32 v106, -1, v106, s[58:59]             // LDD clip if OOB. offset
/* (d1,vc1,d0,vc0)=(0,1,2,1) */
s_mov_b32 s54, 129                                 // coordOffset0 d0=2 vc0=1
_v_add_co_u32 v4, vcc, v0, s54                     // coord0.2: coord0 += d0*sg0*VW + vc0
v_cmp_lt_u32 s[54:55], v4, s[sgprSizeI]            // coord0 < size0
v_cmp_lt_u32 s[58:59], v1, s[sgprSizeJ]            // coord1 < size1
s_and_b64 s[58:59], s[54:55], s[58:59]             // in0 && in1
_v_add_lshl_u32 v111, v2, v4, 0x1                  // scaleToBpe: accumulate d0 lower and *= bpe into Cin addr
v_cndmask_b32 v111, -1, v111, s[58:59]             // LDC clip if OOB. offset
_v_add_lshl_u32 v110, v3, v4, 0x1                  // scaleToBpe: accumulate d0 lower and *= bpe into Cin addr
v_cndmask_b32 v110, -1, v110, s[58:59]             // LDD clip if OOB. offset
/* (d1,vc1,d0,vc0)=(0,1,2,2) */
s_mov_b32 s54, 130                                 // coordOffset0 d0=2 vc0=2
_v_add_co_u32 v4, vcc, v0, s54                     // coord0.2: coord0 += d0*sg0*VW + vc0
v_cmp_lt_u32 s[54:55], v4, s[sgprSizeI]            // coord0 < size0
v_cmp_lt_u32 s[58:59], v1, s[sgprSizeJ]            // coord1 < size1
s_and_b64 s[58:59], s[54:55], s[58:59]             // in0 && in1
_v_add_lshl_u32 v115, v2, v4, 0x1                  // scaleToBpe: accumulate d0 lower and *= bpe into Cin addr
v_cndmask_b32 v115, -1, v115, s[58:59]             // LDC clip if OOB. offset
_v_add_lshl_u32 v114, v3, v4, 0x1                  // scaleToBpe: accumulate d0 lower and *= bpe into Cin addr
v_cndmask_b32 v114, -1, v114, s[58:59]             // LDD clip if OOB. offset
/* (d1,vc1,d0,vc0)=(0,1,2,3) */
s_mov_b32 s54, 131                                 // coordOffset0 d0=2 vc0=3
_v_add_co_u32 v4, vcc, v0, s54                     // coord0.2: coord0 += d0*sg0*VW + vc0
v_cmp_lt_u32 s[54:55], v4, s[sgprSizeI]            // coord0 < size0
v_cmp_lt_u32 s[58:59], v1, s[sgprSizeJ]            // coord1 < size1
s_and_b64 s[58:59], s[54:55], s[58:59]             // in0 && in1
_v_add_lshl_u32 v122, v2, v4, 0x1                  // scaleToBpe: accumulate d0 lower and *= bpe into Cin addr
v_cndmask_b32 v122, -1, v122, s[58:59]             // LDC clip if OOB. offset
_v_add_lshl_u32 v121, v3, v4, 0x1                  // scaleToBpe: accumulate d0 lower and *= bpe into Cin addr
v_cndmask_b32 v121, -1, v121, s[58:59]             // LDD clip if OOB. offset
/* (d1,vc1,d0,vc0)=(0,1,3,0) */
s_mov_b32 s54, 192                                 // coordOffset0 d0=3 vc0=0
_v_add_co_u32 v4, vcc, v0, s54                     // coord0.2: coord0 += d0*sg0*VW + vc0
v_cmp_lt_u32 s[54:55], v4, s[sgprSizeI]            // coord0 < size0
v_cmp_lt_u32 s[58:59], v1, s[sgprSizeJ]            // coord1 < size1
s_and_b64 s[58:59], s[54:55], s[58:59]             // in0 && in1
_v_add_lshl_u32 v126, v2, v4, 0x1                  // scaleToBpe: accumulate d0 lower and *= bpe into Cin addr
v_cndmask_b32 v126, -1, v126, s[58:59]             // LDC clip if OOB. offset
_v_add_lshl_u32 v125, v3, v4, 0x1                  // scaleToBpe: accumulate d0 lower and *= bpe into Cin addr
v_cndmask_b32 v125, -1, v125, s[58:59]             // LDD clip if OOB. offset
/* (d1,vc1,d0,vc0)=(0,1,3,1) */
s_mov_b32 s54, 193                                 // coordOffset0 d0=3 vc0=1
_v_add_co_u32 v4, vcc, v0, s54                     // coord0.2: coord0 += d0*sg0*VW + vc0
v_cmp_lt_u32 s[54:55], v4, s[sgprSizeI]            // coord0 < size0
v_cmp_lt_u32 s[58:59], v1, s[sgprSizeJ]            // coord1 < size1
s_and_b64 s[58:59], s[54:55], s[58:59]             // in0 && in1
_v_add_lshl_u32 v130, v2, v4, 0x1                  // scaleToBpe: accumulate d0 lower and *= bpe into Cin addr
v_cndmask_b32 v130, -1, v130, s[58:59]             // LDC clip if OOB. offset
_v_add_lshl_u32 v129, v3, v4, 0x1                  // scaleToBpe: accumulate d0 lower and *= bpe into Cin addr
v_cndmask_b32 v129, -1, v129, s[58:59]             // LDD clip if OOB. offset
/* (d1,vc1,d0,vc0)=(0,1,3,2) */
s_mov_b32 s54, 194                                 // coordOffset0 d0=3 vc0=2
_v_add_co_u32 v4, vcc, v0, s54                     // coord0.2: coord0 += d0*sg0*VW + vc0
v_cmp_lt_u32 s[54:55], v4, s[sgprSizeI]            // coord0 < size0
v_cmp_lt_u32 s[58:59], v1, s[sgprSizeJ]            // coord1 < size1
s_and_b64 s[58:59], s[54:55], s[58:59]             // in0 && in1
_v_add_lshl_u32 v134, v2, v4, 0x1                  // scaleToBpe: accumulate d0 lower and *= bpe into Cin addr
v_cndmask_b32 v134, -1, v134, s[58:59]             // LDC clip if OOB. offset
_v_add_lshl_u32 v133, v3, v4, 0x1                  // scaleToBpe: accumulate d0 lower and *= bpe into Cin addr
v_cndmask_b32 v133, -1, v133, s[58:59]             // LDD clip if OOB. offset
/* (d1,vc1,d0,vc0)=(0,1,3,3) */
s_mov_b32 s54, 195                                 // coordOffset0 d0=3 vc0=3
_v_add_co_u32 v4, vcc, v0, s54                     // coord0.2: coord0 += d0*sg0*VW + vc0
v_cmp_lt_u32 s[54:55], v4, s[sgprSizeI]            // coord0 < size0
v_cmp_lt_u32 s[58:59], v1, s[sgprSizeJ]            // coord1 < size1
s_and_b64 s[58:59], s[54:55], s[58:59]             // in0 && in1
_v_add_lshl_u32 v138, v2, v4, 0x1                  // scaleToBpe: accumulate d0 lower and *= bpe into Cin addr
v_cndmask_b32 v138, -1, v138, s[58:59]             // LDC clip if OOB. offset
_v_add_lshl_u32 v137, v3, v4, 0x1                  // scaleToBpe: accumulate d0 lower and *= bpe into Cin addr
v_cndmask_b32 v137, -1, v137, s[58:59]             // LDD clip if OOB. offset
/* (d1,vc1,d0,vc0)=(0,2,0,0) */
_v_add_co_u32 v1, vcc, v1, 1                       // coord1.1: coord1Vgpr += d1*sg1*VW + vc1

/* Fix for UseInitialStridesCD, emitAddressSetupCode */
_v_add_u32 v2, v2, s[sgprStrideC1J]                // ROWINC- Move cinRowPtr to next row
_v_add_u32 v3, v3, s[sgprStrideD1J]                // Move coutRowPtr to next row
v_cmp_lt_u32 s[54:55], v0, s[sgprSizeI]            // coord0 < size0
v_cmp_lt_u32 s[58:59], v1, s[sgprSizeJ]            // coord1 < size1
s_and_b64 s[58:59], s[54:55], s[58:59]             // in0 && in1
_v_add_lshl_u32 v142, v2, v0, 0x1                  // scaleToBpe: accumulate d0 lower and *= bpe into Cin addr
v_cndmask_b32 v142, -1, v142, s[58:59]             // LDC clip if OOB. offset
_v_add_lshl_u32 v141, v3, v0, 0x1                  // scaleToBpe: accumulate d0 lower and *= bpe into Cin addr
v_cndmask_b32 v141, -1, v141, s[58:59]             // LDD clip if OOB. offset
/* (d1,vc1,d0,vc0)=(0,2,0,1) */
_v_add_co_u32 v4, vcc, v0, 1                       // coord0.1: coord0 += d0*sg0*VW + vc0
v_cmp_lt_u32 s[54:55], v4, s[sgprSizeI]            // coord0 < size0
v_cmp_lt_u32 s[58:59], v1, s[sgprSizeJ]            // coord1 < size1
s_and_b64 s[58:59], s[54:55], s[58:59]             // in0 && in1
_v_add_lshl_u32 v146, v2, v4, 0x1                  // scaleToBpe: accumulate d0 lower and *= bpe into Cin addr
v_cndmask_b32 v146, -1, v146, s[58:59]             // LDC clip if OOB. offset
_v_add_lshl_u32 v145, v3, v4, 0x1                  // scaleToBpe: accumulate d0 lower and *= bpe into Cin addr
v_cndmask_b32 v145, -1, v145, s[58:59]             // LDD clip if OOB. offset
/* (d1,vc1,d0,vc0)=(0,2,0,2) */
_v_add_co_u32 v4, vcc, v0, 2                       // coord0.1: coord0 += d0*sg0*VW + vc0
	;; [unrolled: 9-line block ×3, first 2 shown]
v_cmp_lt_u32 s[54:55], v4, s[sgprSizeI]            // coord0 < size0
v_cmp_lt_u32 s[58:59], v1, s[sgprSizeJ]            // coord1 < size1
s_and_b64 s[58:59], s[54:55], s[58:59]             // in0 && in1
_v_add_lshl_u32 v154, v2, v4, 0x1                  // scaleToBpe: accumulate d0 lower and *= bpe into Cin addr
v_cndmask_b32 v154, -1, v154, s[58:59]             // LDC clip if OOB. offset
_v_add_lshl_u32 v153, v3, v4, 0x1                  // scaleToBpe: accumulate d0 lower and *= bpe into Cin addr
v_cndmask_b32 v153, -1, v153, s[58:59]             // LDD clip if OOB. offset
/* (d1,vc1,d0,vc0)=(0,2,1,0) */
_v_add_co_u32 v4, vcc, v0, 64                      // coord0.1: coord0 += d0*sg0*VW + vc0
v_cmp_lt_u32 s[54:55], v4, s[sgprSizeI]            // coord0 < size0
v_cmp_lt_u32 s[58:59], v1, s[sgprSizeJ]            // coord1 < size1
s_and_b64 s[58:59], s[54:55], s[58:59]             // in0 && in1
_v_add_lshl_u32 v158, v2, v4, 0x1                  // scaleToBpe: accumulate d0 lower and *= bpe into Cin addr
v_cndmask_b32 v158, -1, v158, s[58:59]             // LDC clip if OOB. offset
_v_add_lshl_u32 v157, v3, v4, 0x1                  // scaleToBpe: accumulate d0 lower and *= bpe into Cin addr
v_cndmask_b32 v157, -1, v157, s[58:59]             // LDD clip if OOB. offset
/* (d1,vc1,d0,vc0)=(0,2,1,1) */
s_mov_b32 s54, 65                                  // coordOffset0 d0=1 vc0=1
_v_add_co_u32 v4, vcc, v0, s54                     // coord0.2: coord0 += d0*sg0*VW + vc0
v_cmp_lt_u32 s[54:55], v4, s[sgprSizeI]            // coord0 < size0
v_cmp_lt_u32 s[58:59], v1, s[sgprSizeJ]            // coord1 < size1
s_and_b64 s[58:59], s[54:55], s[58:59]             // in0 && in1
_v_add_lshl_u32 v162, v2, v4, 0x1                  // scaleToBpe: accumulate d0 lower and *= bpe into Cin addr
v_cndmask_b32 v162, -1, v162, s[58:59]             // LDC clip if OOB. offset
_v_add_lshl_u32 v161, v3, v4, 0x1                  // scaleToBpe: accumulate d0 lower and *= bpe into Cin addr
v_cndmask_b32 v161, -1, v161, s[58:59]             // LDD clip if OOB. offset
/* (d1,vc1,d0,vc0)=(0,2,1,2) */
s_mov_b32 s54, 66                                  // coordOffset0 d0=1 vc0=2
_v_add_co_u32 v4, vcc, v0, s54                     // coord0.2: coord0 += d0*sg0*VW + vc0
	;; [unrolled: 10-line block ×3, first 2 shown]
v_cmp_lt_u32 s[54:55], v4, s[sgprSizeI]            // coord0 < size0
v_cmp_lt_u32 s[58:59], v1, s[sgprSizeJ]            // coord1 < size1
s_and_b64 s[58:59], s[54:55], s[58:59]             // in0 && in1
_v_add_lshl_u32 v170, v2, v4, 0x1                  // scaleToBpe: accumulate d0 lower and *= bpe into Cin addr
v_cndmask_b32 v170, -1, v170, s[58:59]             // LDC clip if OOB. offset
_v_add_lshl_u32 v169, v3, v4, 0x1                  // scaleToBpe: accumulate d0 lower and *= bpe into Cin addr
v_cndmask_b32 v169, -1, v169, s[58:59]             // LDD clip if OOB. offset
/* (d1,vc1,d0,vc0)=(0,2,2,0) */
s_mov_b32 s54, 128                                 // coordOffset0 d0=2 vc0=0
_v_add_co_u32 v4, vcc, v0, s54                     // coord0.2: coord0 += d0*sg0*VW + vc0
v_cmp_lt_u32 s[54:55], v4, s[sgprSizeI]            // coord0 < size0
v_cmp_lt_u32 s[58:59], v1, s[sgprSizeJ]            // coord1 < size1
s_and_b64 s[58:59], s[54:55], s[58:59]             // in0 && in1
_v_add_lshl_u32 v174, v2, v4, 0x1                  // scaleToBpe: accumulate d0 lower and *= bpe into Cin addr
v_cndmask_b32 v174, -1, v174, s[58:59]             // LDC clip if OOB. offset
_v_add_lshl_u32 v173, v3, v4, 0x1                  // scaleToBpe: accumulate d0 lower and *= bpe into Cin addr
v_cndmask_b32 v173, -1, v173, s[58:59]             // LDD clip if OOB. offset
/* (d1,vc1,d0,vc0)=(0,2,2,1) */
s_mov_b32 s54, 129                                 // coordOffset0 d0=2 vc0=1
_v_add_co_u32 v4, vcc, v0, s54                     // coord0.2: coord0 += d0*sg0*VW + vc0
v_cmp_lt_u32 s[54:55], v4, s[sgprSizeI]            // coord0 < size0
v_cmp_lt_u32 s[58:59], v1, s[sgprSizeJ]            // coord1 < size1
s_and_b64 s[58:59], s[54:55], s[58:59]             // in0 && in1
_v_add_lshl_u32 v178, v2, v4, 0x1                  // scaleToBpe: accumulate d0 lower and *= bpe into Cin addr
v_cndmask_b32 v178, -1, v178, s[58:59]             // LDC clip if OOB. offset
_v_add_lshl_u32 v177, v3, v4, 0x1                  // scaleToBpe: accumulate d0 lower and *= bpe into Cin addr
v_cndmask_b32 v177, -1, v177, s[58:59]             // LDD clip if OOB. offset
/* (d1,vc1,d0,vc0)=(0,2,2,2) */
s_mov_b32 s54, 130                                 // coordOffset0 d0=2 vc0=2
_v_add_co_u32 v4, vcc, v0, s54                     // coord0.2: coord0 += d0*sg0*VW + vc0
v_cmp_lt_u32 s[54:55], v4, s[sgprSizeI]            // coord0 < size0
v_cmp_lt_u32 s[58:59], v1, s[sgprSizeJ]            // coord1 < size1
s_and_b64 s[58:59], s[54:55], s[58:59]             // in0 && in1
_v_add_lshl_u32 v182, v2, v4, 0x1                  // scaleToBpe: accumulate d0 lower and *= bpe into Cin addr
v_cndmask_b32 v182, -1, v182, s[58:59]             // LDC clip if OOB. offset
_v_add_lshl_u32 v181, v3, v4, 0x1                  // scaleToBpe: accumulate d0 lower and *= bpe into Cin addr
v_cndmask_b32 v181, -1, v181, s[58:59]             // LDD clip if OOB. offset
/* (d1,vc1,d0,vc0)=(0,2,2,3) */
s_mov_b32 s54, 131                                 // coordOffset0 d0=2 vc0=3
_v_add_co_u32 v4, vcc, v0, s54                     // coord0.2: coord0 += d0*sg0*VW + vc0
v_cmp_lt_u32 s[54:55], v4, s[sgprSizeI]            // coord0 < size0
v_cmp_lt_u32 s[58:59], v1, s[sgprSizeJ]            // coord1 < size1
s_and_b64 s[58:59], s[54:55], s[58:59]             // in0 && in1
_v_add_lshl_u32 v186, v2, v4, 0x1                  // scaleToBpe: accumulate d0 lower and *= bpe into Cin addr
v_cndmask_b32 v186, -1, v186, s[58:59]             // LDC clip if OOB. offset
_v_add_lshl_u32 v185, v3, v4, 0x1                  // scaleToBpe: accumulate d0 lower and *= bpe into Cin addr
v_cndmask_b32 v185, -1, v185, s[58:59]             // LDD clip if OOB. offset
/* (d1,vc1,d0,vc0)=(0,2,3,0) */
s_mov_b32 s54, 192                                 // coordOffset0 d0=3 vc0=0
_v_add_co_u32 v4, vcc, v0, s54                     // coord0.2: coord0 += d0*sg0*VW + vc0
v_cmp_lt_u32 s[54:55], v4, s[sgprSizeI]            // coord0 < size0
v_cmp_lt_u32 s[58:59], v1, s[sgprSizeJ]            // coord1 < size1
s_and_b64 s[58:59], s[54:55], s[58:59]             // in0 && in1
_v_add_lshl_u32 v190, v2, v4, 0x1                  // scaleToBpe: accumulate d0 lower and *= bpe into Cin addr
v_cndmask_b32 v190, -1, v190, s[58:59]             // LDC clip if OOB. offset
_v_add_lshl_u32 v189, v3, v4, 0x1                  // scaleToBpe: accumulate d0 lower and *= bpe into Cin addr
v_cndmask_b32 v189, -1, v189, s[58:59]             // LDD clip if OOB. offset
/* (d1,vc1,d0,vc0)=(0,2,3,1) */
s_mov_b32 s54, 193                                 // coordOffset0 d0=3 vc0=1
_v_add_co_u32 v4, vcc, v0, s54                     // coord0.2: coord0 += d0*sg0*VW + vc0
v_cmp_lt_u32 s[54:55], v4, s[sgprSizeI]            // coord0 < size0
v_cmp_lt_u32 s[58:59], v1, s[sgprSizeJ]            // coord1 < size1
s_and_b64 s[58:59], s[54:55], s[58:59]             // in0 && in1
_v_add_lshl_u32 v194, v2, v4, 0x1                  // scaleToBpe: accumulate d0 lower and *= bpe into Cin addr
v_cndmask_b32 v194, -1, v194, s[58:59]             // LDC clip if OOB. offset
_v_add_lshl_u32 v193, v3, v4, 0x1                  // scaleToBpe: accumulate d0 lower and *= bpe into Cin addr
v_cndmask_b32 v193, -1, v193, s[58:59]             // LDD clip if OOB. offset
/* (d1,vc1,d0,vc0)=(0,2,3,2) */
s_mov_b32 s54, 194                                 // coordOffset0 d0=3 vc0=2
_v_add_co_u32 v4, vcc, v0, s54                     // coord0.2: coord0 += d0*sg0*VW + vc0
v_cmp_lt_u32 s[54:55], v4, s[sgprSizeI]            // coord0 < size0
v_cmp_lt_u32 s[58:59], v1, s[sgprSizeJ]            // coord1 < size1
s_and_b64 s[58:59], s[54:55], s[58:59]             // in0 && in1
_v_add_lshl_u32 v198, v2, v4, 0x1                  // scaleToBpe: accumulate d0 lower and *= bpe into Cin addr
v_cndmask_b32 v198, -1, v198, s[58:59]             // LDC clip if OOB. offset
_v_add_lshl_u32 v197, v3, v4, 0x1                  // scaleToBpe: accumulate d0 lower and *= bpe into Cin addr
v_cndmask_b32 v197, -1, v197, s[58:59]             // LDD clip if OOB. offset
/* (d1,vc1,d0,vc0)=(0,2,3,3) */
s_mov_b32 s54, 195                                 // coordOffset0 d0=3 vc0=3
_v_add_co_u32 v4, vcc, v0, s54                     // coord0.2: coord0 += d0*sg0*VW + vc0
v_cmp_lt_u32 s[54:55], v4, s[sgprSizeI]            // coord0 < size0
v_cmp_lt_u32 s[58:59], v1, s[sgprSizeJ]            // coord1 < size1
s_and_b64 s[58:59], s[54:55], s[58:59]             // in0 && in1
_v_add_lshl_u32 v202, v2, v4, 0x1                  // scaleToBpe: accumulate d0 lower and *= bpe into Cin addr
v_cndmask_b32 v202, -1, v202, s[58:59]             // LDC clip if OOB. offset
_v_add_lshl_u32 v201, v3, v4, 0x1                  // scaleToBpe: accumulate d0 lower and *= bpe into Cin addr
v_cndmask_b32 v201, -1, v201, s[58:59]             // LDD clip if OOB. offset
/* (d1,vc1,d0,vc0)=(0,3,0,0) */
_v_add_co_u32 v1, vcc, v1, 1                       // coord1.1: coord1Vgpr += d1*sg1*VW + vc1

/* Fix for UseInitialStridesCD, emitAddressSetupCode */
_v_add_u32 v2, v2, s[sgprStrideC1J]                // ROWINC- Move cinRowPtr to next row
_v_add_u32 v3, v3, s[sgprStrideD1J]                // Move coutRowPtr to next row
v_cmp_lt_u32 s[54:55], v0, s[sgprSizeI]            // coord0 < size0
v_cmp_lt_u32 s[58:59], v1, s[sgprSizeJ]            // coord1 < size1
s_and_b64 s[58:59], s[54:55], s[58:59]             // in0 && in1
_v_add_lshl_u32 v206, v2, v0, 0x1                  // scaleToBpe: accumulate d0 lower and *= bpe into Cin addr
v_cndmask_b32 v206, -1, v206, s[58:59]             // LDC clip if OOB. offset
_v_add_lshl_u32 v205, v3, v0, 0x1                  // scaleToBpe: accumulate d0 lower and *= bpe into Cin addr
v_cndmask_b32 v205, -1, v205, s[58:59]             // LDD clip if OOB. offset
/* (d1,vc1,d0,vc0)=(0,3,0,1) */
_v_add_co_u32 v4, vcc, v0, 1                       // coord0.1: coord0 += d0*sg0*VW + vc0
v_cmp_lt_u32 s[54:55], v4, s[sgprSizeI]            // coord0 < size0
v_cmp_lt_u32 s[58:59], v1, s[sgprSizeJ]            // coord1 < size1
s_and_b64 s[58:59], s[54:55], s[58:59]             // in0 && in1
_v_add_lshl_u32 v210, v2, v4, 0x1                  // scaleToBpe: accumulate d0 lower and *= bpe into Cin addr
v_cndmask_b32 v210, -1, v210, s[58:59]             // LDC clip if OOB. offset
_v_add_lshl_u32 v209, v3, v4, 0x1                  // scaleToBpe: accumulate d0 lower and *= bpe into Cin addr
v_cndmask_b32 v209, -1, v209, s[58:59]             // LDD clip if OOB. offset
/* (d1,vc1,d0,vc0)=(0,3,0,2) */
_v_add_co_u32 v4, vcc, v0, 2                       // coord0.1: coord0 += d0*sg0*VW + vc0
	;; [unrolled: 9-line block ×3, first 2 shown]
v_cmp_lt_u32 s[54:55], v4, s[sgprSizeI]            // coord0 < size0
v_cmp_lt_u32 s[58:59], v1, s[sgprSizeJ]            // coord1 < size1
s_and_b64 s[58:59], s[54:55], s[58:59]             // in0 && in1
_v_add_lshl_u32 v218, v2, v4, 0x1                  // scaleToBpe: accumulate d0 lower and *= bpe into Cin addr
v_cndmask_b32 v218, -1, v218, s[58:59]             // LDC clip if OOB. offset
_v_add_lshl_u32 v217, v3, v4, 0x1                  // scaleToBpe: accumulate d0 lower and *= bpe into Cin addr
v_cndmask_b32 v217, -1, v217, s[58:59]             // LDD clip if OOB. offset
/* (d1,vc1,d0,vc0)=(0,3,1,0) */
_v_add_co_u32 v4, vcc, v0, 64                      // coord0.1: coord0 += d0*sg0*VW + vc0
v_cmp_lt_u32 s[54:55], v4, s[sgprSizeI]            // coord0 < size0
v_cmp_lt_u32 s[58:59], v1, s[sgprSizeJ]            // coord1 < size1
s_and_b64 s[58:59], s[54:55], s[58:59]             // in0 && in1
_v_add_lshl_u32 v222, v2, v4, 0x1                  // scaleToBpe: accumulate d0 lower and *= bpe into Cin addr
v_cndmask_b32 v222, -1, v222, s[58:59]             // LDC clip if OOB. offset
_v_add_lshl_u32 v221, v3, v4, 0x1                  // scaleToBpe: accumulate d0 lower and *= bpe into Cin addr
v_cndmask_b32 v221, -1, v221, s[58:59]             // LDD clip if OOB. offset
/* (d1,vc1,d0,vc0)=(0,3,1,1) */
s_mov_b32 s54, 65                                  // coordOffset0 d0=1 vc0=1
_v_add_co_u32 v4, vcc, v0, s54                     // coord0.2: coord0 += d0*sg0*VW + vc0
v_cmp_lt_u32 s[54:55], v4, s[sgprSizeI]            // coord0 < size0
v_cmp_lt_u32 s[58:59], v1, s[sgprSizeJ]            // coord1 < size1
s_and_b64 s[58:59], s[54:55], s[58:59]             // in0 && in1
_v_add_lshl_u32 v226, v2, v4, 0x1                  // scaleToBpe: accumulate d0 lower and *= bpe into Cin addr
v_cndmask_b32 v226, -1, v226, s[58:59]             // LDC clip if OOB. offset
_v_add_lshl_u32 v225, v3, v4, 0x1                  // scaleToBpe: accumulate d0 lower and *= bpe into Cin addr
v_cndmask_b32 v225, -1, v225, s[58:59]             // LDD clip if OOB. offset
/* (d1,vc1,d0,vc0)=(0,3,1,2) */
s_mov_b32 s54, 66                                  // coordOffset0 d0=1 vc0=2
_v_add_co_u32 v4, vcc, v0, s54                     // coord0.2: coord0 += d0*sg0*VW + vc0
	;; [unrolled: 10-line block ×3, first 2 shown]
v_cmp_lt_u32 s[54:55], v4, s[sgprSizeI]            // coord0 < size0
v_cmp_lt_u32 s[58:59], v1, s[sgprSizeJ]            // coord1 < size1
s_and_b64 s[58:59], s[54:55], s[58:59]             // in0 && in1
_v_add_lshl_u32 v234, v2, v4, 0x1                  // scaleToBpe: accumulate d0 lower and *= bpe into Cin addr
v_cndmask_b32 v234, -1, v234, s[58:59]             // LDC clip if OOB. offset
_v_add_lshl_u32 v233, v3, v4, 0x1                  // scaleToBpe: accumulate d0 lower and *= bpe into Cin addr
v_cndmask_b32 v233, -1, v233, s[58:59]             // LDD clip if OOB. offset
/* (d1,vc1,d0,vc0)=(0,3,2,0) */
s_mov_b32 s54, 128                                 // coordOffset0 d0=2 vc0=0
_v_add_co_u32 v4, vcc, v0, s54                     // coord0.2: coord0 += d0*sg0*VW + vc0
v_cmp_lt_u32 s[54:55], v4, s[sgprSizeI]            // coord0 < size0
v_cmp_lt_u32 s[58:59], v1, s[sgprSizeJ]            // coord1 < size1
s_and_b64 s[58:59], s[54:55], s[58:59]             // in0 && in1
_v_add_lshl_u32 v238, v2, v4, 0x1                  // scaleToBpe: accumulate d0 lower and *= bpe into Cin addr
v_cndmask_b32 v238, -1, v238, s[58:59]             // LDC clip if OOB. offset
_v_add_lshl_u32 v237, v3, v4, 0x1                  // scaleToBpe: accumulate d0 lower and *= bpe into Cin addr
v_cndmask_b32 v237, -1, v237, s[58:59]             // LDD clip if OOB. offset
/* (d1,vc1,d0,vc0)=(0,3,2,1) */
s_mov_b32 s54, 129                                 // coordOffset0 d0=2 vc0=1
_v_add_co_u32 v4, vcc, v0, s54                     // coord0.2: coord0 += d0*sg0*VW + vc0
	;; [unrolled: 10-line block ×4, first 2 shown]
v_cmp_lt_u32 s[54:55], v4, s[sgprSizeI]            // coord0 < size0
v_cmp_lt_u32 s[58:59], v1, s[sgprSizeJ]            // coord1 < size1
s_and_b64 s[58:59], s[54:55], s[58:59]             // in0 && in1
_v_add_lshl_u32 v250, v2, v4, 0x1                  // scaleToBpe: accumulate d0 lower and *= bpe into Cin addr
v_cndmask_b32 v250, -1, v250, s[58:59]             // LDC clip if OOB. offset
_v_add_lshl_u32 v249, v3, v4, 0x1                  // scaleToBpe: accumulate d0 lower and *= bpe into Cin addr
v_cndmask_b32 v249, -1, v249, s[58:59]             // LDD clip if OOB. offset
_buffer_load_d16_b16 v12, v11, s[sgprSrdC:sgprSrdC+3], 0, offen offset:0,  sc0 sc1 // load C for beta calc
_buffer_load_d16_b16 v16, v15, s[sgprSrdC:sgprSrdC+3], 0, offen offset:0,  sc0 sc1 // load C for beta calc
	;; [unrolled: 1-line block ×60, first 2 shown]
s_sleep 5 // optimization: sync and wait
s_barrier
v_accvgpr_read_b32 v[vgprValuC+13], acc0 // copy acc to vreg[0]
v_accvgpr_read_b32 v[vgprValuC+17], acc4 // copy acc to vreg[1]
v_accvgpr_read_b32 v[vgprValuC+21], acc8 // copy acc to vreg[2]
v_accvgpr_read_b32 v[vgprValuC+25], acc12 // copy acc to vreg[3]
v_accvgpr_read_b32 v[vgprValuC+29], acc16 // copy acc to vreg[4]
v_accvgpr_read_b32 v[vgprValuC+33], acc20 // copy acc to vreg[5]
v_accvgpr_read_b32 v[vgprValuC+37], acc24 // copy acc to vreg[6]
v_accvgpr_read_b32 v[vgprValuC+41], acc28 // copy acc to vreg[7]
v_accvgpr_read_b32 v[vgprValuC+45], acc32 // copy acc to vreg[8]
v_accvgpr_read_b32 v[vgprValuC+49], acc36 // copy acc to vreg[9]
v_accvgpr_read_b32 v[vgprValuC+53], acc40 // copy acc to vreg[10]
v_accvgpr_read_b32 v[vgprValuC+57], acc44 // copy acc to vreg[11]
v_accvgpr_read_b32 v[vgprValuC+61], acc48 // copy acc to vreg[12]
v_accvgpr_read_b32 v[vgprValuC+65], acc52 // copy acc to vreg[13]
v_accvgpr_read_b32 v[vgprValuC+69], acc56 // copy acc to vreg[14]
v_accvgpr_read_b32 v[vgprValuC+73], acc60 // copy acc to vreg[15]
v_accvgpr_read_b32 v[vgprValuC+77], acc1 // copy acc to vreg[16]
v_accvgpr_read_b32 v[vgprValuC+81], acc5 // copy acc to vreg[17]
v_accvgpr_read_b32 v[vgprValuC+85], acc9 // copy acc to vreg[18]
v_accvgpr_read_b32 v[vgprValuC+89], acc13 // copy acc to vreg[19]
v_accvgpr_read_b32 v[vgprValuC+93], acc17 // copy acc to vreg[20]
v_accvgpr_read_b32 v[vgprValuC+97], acc21 // copy acc to vreg[21]
v_accvgpr_read_b32 v[vgprValuC+101], acc25 // copy acc to vreg[22]
v_accvgpr_read_b32 v[vgprValuC+105], acc29 // copy acc to vreg[23]
v_accvgpr_read_b32 v[vgprValuC+109], acc33 // copy acc to vreg[24]
v_accvgpr_read_b32 v[vgprValuC+113], acc37 // copy acc to vreg[25]
v_accvgpr_read_b32 v[vgprValuC+120], acc41 // copy acc to vreg[26]
v_accvgpr_read_b32 v[vgprValuC+124], acc45 // copy acc to vreg[27]
v_accvgpr_read_b32 v[vgprValuC+128], acc49 // copy acc to vreg[28]
v_accvgpr_read_b32 v[vgprValuC+132], acc53 // copy acc to vreg[29]
v_accvgpr_read_b32 v[vgprValuC+136], acc57 // copy acc to vreg[30]
v_accvgpr_read_b32 v[vgprValuC+140], acc61 // copy acc to vreg[31]
v_accvgpr_read_b32 v[vgprValuC+144], acc2 // copy acc to vreg[32]
v_accvgpr_read_b32 v[vgprValuC+148], acc6 // copy acc to vreg[33]
v_accvgpr_read_b32 v[vgprValuC+152], acc10 // copy acc to vreg[34]
v_accvgpr_read_b32 v[vgprValuC+156], acc14 // copy acc to vreg[35]
v_accvgpr_read_b32 v[vgprValuC+160], acc18 // copy acc to vreg[36]
v_accvgpr_read_b32 v[vgprValuC+164], acc22 // copy acc to vreg[37]
v_accvgpr_read_b32 v[vgprValuC+168], acc26 // copy acc to vreg[38]
v_accvgpr_read_b32 v[vgprValuC+172], acc30 // copy acc to vreg[39]
v_accvgpr_read_b32 v[vgprValuC+176], acc34 // copy acc to vreg[40]
v_accvgpr_read_b32 v[vgprValuC+180], acc38 // copy acc to vreg[41]
v_accvgpr_read_b32 v[vgprValuC+184], acc42 // copy acc to vreg[42]
v_accvgpr_read_b32 v[vgprValuC+188], acc46 // copy acc to vreg[43]
v_accvgpr_read_b32 v[vgprValuC+192], acc50 // copy acc to vreg[44]
v_accvgpr_read_b32 v[vgprValuC+196], acc54 // copy acc to vreg[45]
v_accvgpr_read_b32 v[vgprValuC+200], acc58 // copy acc to vreg[46]
v_accvgpr_read_b32 v[vgprValuC+204], acc62 // copy acc to vreg[47]
v_accvgpr_read_b32 v[vgprValuC+208], acc3 // copy acc to vreg[48]
v_accvgpr_read_b32 v[vgprValuC+212], acc7 // copy acc to vreg[49]
v_accvgpr_read_b32 v[vgprValuC+216], acc11 // copy acc to vreg[50]
v_accvgpr_read_b32 v[vgprValuC+220], acc15 // copy acc to vreg[51]
v_accvgpr_read_b32 v[vgprValuC+224], acc19 // copy acc to vreg[52]
v_accvgpr_read_b32 v[vgprValuC+228], acc23 // copy acc to vreg[53]
v_accvgpr_read_b32 v[vgprValuC+232], acc27 // copy acc to vreg[54]
v_accvgpr_read_b32 v[vgprValuC+236], acc31 // copy acc to vreg[55]
v_accvgpr_read_b32 v[vgprValuC+240], acc35 // copy acc to vreg[56]
v_accvgpr_read_b32 v[vgprValuC+244], acc39 // copy acc to vreg[57]
v_accvgpr_read_b32 v[vgprValuC+248], acc43 // copy acc to vreg[58]
v_accvgpr_read_b32 v[vgprValuC+252], acc47 // copy acc to vreg[59]
s_nop 1                                            // 2 wait states required before reading vgpr

/* rC *= alpha batchElements=[(0, 0, 0, 0), (0, 0, 0, 1), (0, 0, 0, 2), (0, 0, 0, 3), (0, 1, 0, 0), (0, 1, 0, 1), (0, 1, 0, 2), (0, 1, 0, 3), (0, 2, 0, 0), (0, 2, 0, 1), (0, 2, 0, 2), (0, 2, 0, 3), (0, 3, 0, 0), (0, 3, 0, 1), (0, 3, 0, 2), (0, 3, 0, 3), (0, 0, 1, 0), (0, 0, 1, 1), (0, 0, 1, 2), (0, 0, 1, 3), (0, 1, 1, 0), (0, 1, 1, 1), (0, 1, 1, 2), (0, 1, 1, 3), (0, 2, 1, 0), (0, 2, 1, 1), (0, 2, 1, 2), (0, 2, 1, 3), (0, 3, 1, 0), (0, 3, 1, 1), (0, 3, 1, 2), (0, 3, 1, 3), (0, 0, 2, 0), (0, 0, 2, 1), (0, 0, 2, 2), (0, 0, 2, 3), (0, 1, 2, 0), (0, 1, 2, 1), (0, 1, 2, 2), (0, 1, 2, 3), (0, 2, 2, 0), (0, 2, 2, 1), (0, 2, 2, 2), (0, 2, 2, 3), (0, 3, 2, 0), (0, 3, 2, 1), (0, 3, 2, 2), (0, 3, 2, 3), (0, 0, 3, 0), (0, 0, 3, 1), (0, 0, 3, 2), (0, 0, 3, 3), (0, 1, 3, 0), (0, 1, 3, 1), (0, 1, 3, 2), (0, 1, 3, 3), (0, 2, 3, 0), (0, 2, 3, 1), (0, 2, 3, 2), (0, 2, 3, 3)] */
v_mul_f32 v[vgprValuC+13], s[sgprAlpha], v[vgprValuC+13] // *= alpha
v_mul_f32 v[vgprValuC+17], s[sgprAlpha], v[vgprValuC+17] // *= alpha
	;; [unrolled: 1-line block ×60, first 2 shown]
s_waitcnt vmcnt(0)                                 // wait C

/* apply mask, calc new C and issue writes */
v_mov_b32 v7, 0xffff0000                           // mask for pack two bfloat16 element to 32bit
v_mov_b32 v8, 0x7fff0000                           // fp32 Nan
v_mov_b32 v9, 0x7fff                               // rounding bias for bfloat16
v_lshlrev_b32 v4, 16, v12                          // convert bf16 to fp32
_v_mac_f32 v[vgprValuC+13], v4, s[sgprBeta]        // finalSum = sum*alpha + C*beta
v_cmp_u_f32 s[54:55], v[vgprValuC+13], v[vgprValuC+13] // check Nan
v_bfe_u32 v6, v[vgprValuC+13], 16, 1               // Non-Nan case: store lsb of bf16
v_add3_u32 v6, v[vgprValuC+13], v6, v9             // Non-Nan case: add lsb and the increment for rounding
v_cndmask_b32 v[vgprValuC+13], v6, v8, s[54:55]    // 
v_lshrrev_b32 v[vgprValuC+13], 16, v[vgprValuC+13] // convert C to bf16
v_lshlrev_b32 v4, 16, v16                          // convert bf16 to fp32
_v_mac_f32 v[vgprValuC+17], v4, s[sgprBeta]        // finalSum = sum*alpha + C*beta
v_cmp_u_f32 s[54:55], v[vgprValuC+17], v[vgprValuC+17] // check Nan
v_bfe_u32 v6, v[vgprValuC+17], 16, 1               // Non-Nan case: store lsb of bf16
v_add3_u32 v6, v[vgprValuC+17], v6, v9             // Non-Nan case: add lsb and the increment for rounding
v_cndmask_b32 v[vgprValuC+17], v6, v8, s[54:55]    // 
v_lshrrev_b32 v[vgprValuC+17], 16, v[vgprValuC+17] // convert C to bf16
	;; [unrolled: 7-line block ×22, first 2 shown]
v_lshlrev_b32 v4, 16, v100                         // convert bf16 to fp32
_v_mac_f32 v[vgprValuC+101], v4, s[sgprBeta]       // finalSum = sum*alpha + C*beta
v_cmp_u_f32 s[54:55], v[vgprValuC+101], v[vgprValuC+101] // check Nan
v_bfe_u32 v6, v[vgprValuC+101], 16, 1              // Non-Nan case: store lsb of bf16
v_add3_u32 v6, v[vgprValuC+101], v6, v9            // Non-Nan case: add lsb and the increment for rounding
v_cndmask_b32 v[vgprValuC+101], v6, v8, s[54:55]   // 
v_lshrrev_b32 v[vgprValuC+101], 16, v[vgprValuC+101] // convert C to bf16
v_lshlrev_b32 v4, 16, v104                         // convert bf16 to fp32
_v_mac_f32 v[vgprValuC+105], v4, s[sgprBeta]       // finalSum = sum*alpha + C*beta
v_cmp_u_f32 s[54:55], v[vgprValuC+105], v[vgprValuC+105] // check Nan
v_bfe_u32 v6, v[vgprValuC+105], 16, 1              // Non-Nan case: store lsb of bf16
v_add3_u32 v6, v[vgprValuC+105], v6, v9            // Non-Nan case: add lsb and the increment for rounding
v_cndmask_b32 v[vgprValuC+105], v6, v8, s[54:55]   // 
v_lshrrev_b32 v[vgprValuC+105], 16, v[vgprValuC+105] // convert C to bf16
	;; [unrolled: 7-line block ×38, first 2 shown]
_buffer_store_b16 v13, v10, s[sgprSrdD:sgprSrdD+3], 0, offen, offset:0,  sc0 sc1 // store D
_buffer_store_b16 v17, v14, s[sgprSrdD:sgprSrdD+3], 0, offen, offset:0,  sc0 sc1 // store D
	;; [unrolled: 1-line block ×60, first 2 shown]
s_nop 0                                            // 1 wait state required when next inst writes vgprs held by previous dwordx4 store inst
/* optSingleColVgpr=0 optSharedColVgpr=0 optSGPRUsage=BufferLoad_Edge_Mask optSrdIncForRow=0 */
s_sleep 5 // optimization: sync and wait
s_barrier

/******************************************/
/* Global Write Alpha Beta Edge Batch #1 (d1,d0,vc1,vc0) = */
/*    (0,3,3,0:vw1); (0,3,3,1:vw1); (0,3,3,2:vw1); (0,3,3,3:vw1); (1,0,0,0:vw1); (1,0,0,1:vw1); (1,0,0,2:vw1); (1,0,0,3:vw1); (1,1,0,0:vw1); (1,1,0,1:vw1); (1,1,0,2:vw1); (1,1,0,3:vw1); (1,2,0,0:vw1); (1,2,0,1:vw1); (1,2,0,2:vw1); (1,2,0,3:vw1); (1,3,0,0:vw1); (1,3,0,1:vw1); (1,3,0,2:vw1); (1,3,0,3:vw1); (1,0,1,0:vw1); (1,0,1,1:vw1); (1,0,1,2:vw1); (1,0,1,3:vw1); (1,1,1,0:vw1); (1,1,1,1:vw1); (1,1,1,2:vw1); (1,1,1,3:vw1); (1,2,1,0:vw1); (1,2,1,1:vw1); (1,2,1,2:vw1); (1,2,1,3:vw1); (1,3,1,0:vw1); (1,3,1,1:vw1); (1,3,1,2:vw1); (1,3,1,3:vw1); (1,0,2,0:vw1); (1,0,2,1:vw1); (1,0,2,2:vw1); (1,0,2,3:vw1); (1,1,2,0:vw1); (1,1,2,1:vw1); (1,1,2,2:vw1); (1,1,2,3:vw1); (1,2,2,0:vw1); (1,2,2,1:vw1); (1,2,2,2:vw1); (1,2,2,3:vw1); (1,3,2,0:vw1); (1,3,2,1:vw1); (1,3,2,2:vw1); (1,3,2,3:vw1); (1,0,3,0:vw1); (1,0,3,1:vw1); (1,0,3,2:vw1); (1,0,3,3:vw1); (1,1,3,0:vw1); (1,1,3,1:vw1); (1,1,3,2:vw1); (1,1,3,3:vw1) */
/******************************************/

/* calc coords, apply mask, and issue loads (if necessary) */
/* (d1,vc1,d0,vc0)=(0,3,3,0) */
s_mov_b32 s54, 192                                 // coordOffset0 d0=3 vc0=0
_v_add_co_u32 v4, vcc, v0, s54                     // coord0.2: coord0 += d0*sg0*VW + vc0
v_cmp_lt_u32 s[54:55], v4, s[sgprSizeI]            // coord0 < size0
v_cmp_lt_u32 s[58:59], v1, s[sgprSizeJ]            // coord1 < size1
s_and_b64 s[58:59], s[54:55], s[58:59]             // in0 && in1
_v_add_lshl_u32 v11, v2, v4, 0x1                   // scaleToBpe: accumulate d0 lower and *= bpe into Cin addr
v_cndmask_b32 v11, -1, v11, s[58:59]               // LDC clip if OOB. offset
_v_add_lshl_u32 v10, v3, v4, 0x1                   // scaleToBpe: accumulate d0 lower and *= bpe into Cin addr
v_cndmask_b32 v10, -1, v10, s[58:59]               // LDD clip if OOB. offset
/* (d1,vc1,d0,vc0)=(0,3,3,1) */
s_mov_b32 s54, 193                                 // coordOffset0 d0=3 vc0=1
_v_add_co_u32 v4, vcc, v0, s54                     // coord0.2: coord0 += d0*sg0*VW + vc0
v_cmp_lt_u32 s[54:55], v4, s[sgprSizeI]            // coord0 < size0
v_cmp_lt_u32 s[58:59], v1, s[sgprSizeJ]            // coord1 < size1
s_and_b64 s[58:59], s[54:55], s[58:59]             // in0 && in1
_v_add_lshl_u32 v15, v2, v4, 0x1                   // scaleToBpe: accumulate d0 lower and *= bpe into Cin addr
v_cndmask_b32 v15, -1, v15, s[58:59]               // LDC clip if OOB. offset
_v_add_lshl_u32 v14, v3, v4, 0x1                   // scaleToBpe: accumulate d0 lower and *= bpe into Cin addr
v_cndmask_b32 v14, -1, v14, s[58:59]               // LDD clip if OOB. offset
	;; [unrolled: 10-line block ×4, first 2 shown]
/* (d1,vc1,d0,vc0)=(1,0,0,0) */
_v_add_co_u32 v1, vcc, v1, 61                      // coord1.1: coord1Vgpr += d1*sg1*VW + vc1

/* Fix for UseInitialStridesCD, emitAddressSetupCode */
s_mul_i32 s54, s[sgprStrideC1J], 61                // scale stride
_v_add_u32 v2, v2, s54                             // ROWINC- Move cinRowPtr to next row
s_mul_i32 s54, s[sgprStrideD1J], 61                // scale stride
_v_add_u32 v3, v3, s54                             // Move coutRowPtr to next row
v_cmp_lt_u32 s[54:55], v0, s[sgprSizeI]            // coord0 < size0
v_cmp_lt_u32 s[58:59], v1, s[sgprSizeJ]            // coord1 < size1
s_and_b64 s[58:59], s[54:55], s[58:59]             // in0 && in1
_v_add_lshl_u32 v27, v2, v0, 0x1                   // scaleToBpe: accumulate d0 lower and *= bpe into Cin addr
v_cndmask_b32 v27, -1, v27, s[58:59]               // LDC clip if OOB. offset
_v_add_lshl_u32 v26, v3, v0, 0x1                   // scaleToBpe: accumulate d0 lower and *= bpe into Cin addr
v_cndmask_b32 v26, -1, v26, s[58:59]               // LDD clip if OOB. offset
/* (d1,vc1,d0,vc0)=(1,0,0,1) */
_v_add_co_u32 v4, vcc, v0, 1                       // coord0.1: coord0 += d0*sg0*VW + vc0
v_cmp_lt_u32 s[54:55], v4, s[sgprSizeI]            // coord0 < size0
v_cmp_lt_u32 s[58:59], v1, s[sgprSizeJ]            // coord1 < size1
s_and_b64 s[58:59], s[54:55], s[58:59]             // in0 && in1
_v_add_lshl_u32 v31, v2, v4, 0x1                   // scaleToBpe: accumulate d0 lower and *= bpe into Cin addr
v_cndmask_b32 v31, -1, v31, s[58:59]               // LDC clip if OOB. offset
_v_add_lshl_u32 v30, v3, v4, 0x1                   // scaleToBpe: accumulate d0 lower and *= bpe into Cin addr
v_cndmask_b32 v30, -1, v30, s[58:59]               // LDD clip if OOB. offset
/* (d1,vc1,d0,vc0)=(1,0,0,2) */
_v_add_co_u32 v4, vcc, v0, 2                       // coord0.1: coord0 += d0*sg0*VW + vc0
	;; [unrolled: 9-line block ×3, first 2 shown]
v_cmp_lt_u32 s[54:55], v4, s[sgprSizeI]            // coord0 < size0
v_cmp_lt_u32 s[58:59], v1, s[sgprSizeJ]            // coord1 < size1
s_and_b64 s[58:59], s[54:55], s[58:59]             // in0 && in1
_v_add_lshl_u32 v39, v2, v4, 0x1                   // scaleToBpe: accumulate d0 lower and *= bpe into Cin addr
v_cndmask_b32 v39, -1, v39, s[58:59]               // LDC clip if OOB. offset
_v_add_lshl_u32 v38, v3, v4, 0x1                   // scaleToBpe: accumulate d0 lower and *= bpe into Cin addr
v_cndmask_b32 v38, -1, v38, s[58:59]               // LDD clip if OOB. offset
/* (d1,vc1,d0,vc0)=(1,0,1,0) */
_v_add_co_u32 v4, vcc, v0, 64                      // coord0.1: coord0 += d0*sg0*VW + vc0
v_cmp_lt_u32 s[54:55], v4, s[sgprSizeI]            // coord0 < size0
v_cmp_lt_u32 s[58:59], v1, s[sgprSizeJ]            // coord1 < size1
s_and_b64 s[58:59], s[54:55], s[58:59]             // in0 && in1
_v_add_lshl_u32 v43, v2, v4, 0x1                   // scaleToBpe: accumulate d0 lower and *= bpe into Cin addr
v_cndmask_b32 v43, -1, v43, s[58:59]               // LDC clip if OOB. offset
_v_add_lshl_u32 v42, v3, v4, 0x1                   // scaleToBpe: accumulate d0 lower and *= bpe into Cin addr
v_cndmask_b32 v42, -1, v42, s[58:59]               // LDD clip if OOB. offset
/* (d1,vc1,d0,vc0)=(1,0,1,1) */
s_mov_b32 s54, 65                                  // coordOffset0 d0=1 vc0=1
_v_add_co_u32 v4, vcc, v0, s54                     // coord0.2: coord0 += d0*sg0*VW + vc0
v_cmp_lt_u32 s[54:55], v4, s[sgprSizeI]            // coord0 < size0
v_cmp_lt_u32 s[58:59], v1, s[sgprSizeJ]            // coord1 < size1
s_and_b64 s[58:59], s[54:55], s[58:59]             // in0 && in1
_v_add_lshl_u32 v47, v2, v4, 0x1                   // scaleToBpe: accumulate d0 lower and *= bpe into Cin addr
v_cndmask_b32 v47, -1, v47, s[58:59]               // LDC clip if OOB. offset
_v_add_lshl_u32 v46, v3, v4, 0x1                   // scaleToBpe: accumulate d0 lower and *= bpe into Cin addr
v_cndmask_b32 v46, -1, v46, s[58:59]               // LDD clip if OOB. offset
/* (d1,vc1,d0,vc0)=(1,0,1,2) */
s_mov_b32 s54, 66                                  // coordOffset0 d0=1 vc0=2
_v_add_co_u32 v4, vcc, v0, s54                     // coord0.2: coord0 += d0*sg0*VW + vc0
	;; [unrolled: 10-line block ×3, first 2 shown]
v_cmp_lt_u32 s[54:55], v4, s[sgprSizeI]            // coord0 < size0
v_cmp_lt_u32 s[58:59], v1, s[sgprSizeJ]            // coord1 < size1
s_and_b64 s[58:59], s[54:55], s[58:59]             // in0 && in1
_v_add_lshl_u32 v55, v2, v4, 0x1                   // scaleToBpe: accumulate d0 lower and *= bpe into Cin addr
v_cndmask_b32 v55, -1, v55, s[58:59]               // LDC clip if OOB. offset
_v_add_lshl_u32 v54, v3, v4, 0x1                   // scaleToBpe: accumulate d0 lower and *= bpe into Cin addr
v_cndmask_b32 v54, -1, v54, s[58:59]               // LDD clip if OOB. offset
/* (d1,vc1,d0,vc0)=(1,0,2,0) */
s_mov_b32 s54, 128                                 // coordOffset0 d0=2 vc0=0
_v_add_co_u32 v4, vcc, v0, s54                     // coord0.2: coord0 += d0*sg0*VW + vc0
v_cmp_lt_u32 s[54:55], v4, s[sgprSizeI]            // coord0 < size0
v_cmp_lt_u32 s[58:59], v1, s[sgprSizeJ]            // coord1 < size1
s_and_b64 s[58:59], s[54:55], s[58:59]             // in0 && in1
_v_add_lshl_u32 v59, v2, v4, 0x1                   // scaleToBpe: accumulate d0 lower and *= bpe into Cin addr
v_cndmask_b32 v59, -1, v59, s[58:59]               // LDC clip if OOB. offset
_v_add_lshl_u32 v58, v3, v4, 0x1                   // scaleToBpe: accumulate d0 lower and *= bpe into Cin addr
v_cndmask_b32 v58, -1, v58, s[58:59]               // LDD clip if OOB. offset
/* (d1,vc1,d0,vc0)=(1,0,2,1) */
s_mov_b32 s54, 129                                 // coordOffset0 d0=2 vc0=1
_v_add_co_u32 v4, vcc, v0, s54                     // coord0.2: coord0 += d0*sg0*VW + vc0
	;; [unrolled: 10-line block ×8, first 2 shown]
v_cmp_lt_u32 s[54:55], v4, s[sgprSizeI]            // coord0 < size0
v_cmp_lt_u32 s[58:59], v1, s[sgprSizeJ]            // coord1 < size1
s_and_b64 s[58:59], s[54:55], s[58:59]             // in0 && in1
_v_add_lshl_u32 v87, v2, v4, 0x1                   // scaleToBpe: accumulate d0 lower and *= bpe into Cin addr
v_cndmask_b32 v87, -1, v87, s[58:59]               // LDC clip if OOB. offset
_v_add_lshl_u32 v86, v3, v4, 0x1                   // scaleToBpe: accumulate d0 lower and *= bpe into Cin addr
v_cndmask_b32 v86, -1, v86, s[58:59]               // LDD clip if OOB. offset
/* (d1,vc1,d0,vc0)=(1,1,0,0) */
_v_add_co_u32 v1, vcc, v1, 1                       // coord1.1: coord1Vgpr += d1*sg1*VW + vc1

/* Fix for UseInitialStridesCD, emitAddressSetupCode */
_v_add_u32 v2, v2, s[sgprStrideC1J]                // ROWINC- Move cinRowPtr to next row
_v_add_u32 v3, v3, s[sgprStrideD1J]                // Move coutRowPtr to next row
v_cmp_lt_u32 s[54:55], v0, s[sgprSizeI]            // coord0 < size0
v_cmp_lt_u32 s[58:59], v1, s[sgprSizeJ]            // coord1 < size1
s_and_b64 s[58:59], s[54:55], s[58:59]             // in0 && in1
_v_add_lshl_u32 v91, v2, v0, 0x1                   // scaleToBpe: accumulate d0 lower and *= bpe into Cin addr
v_cndmask_b32 v91, -1, v91, s[58:59]               // LDC clip if OOB. offset
_v_add_lshl_u32 v90, v3, v0, 0x1                   // scaleToBpe: accumulate d0 lower and *= bpe into Cin addr
v_cndmask_b32 v90, -1, v90, s[58:59]               // LDD clip if OOB. offset
/* (d1,vc1,d0,vc0)=(1,1,0,1) */
_v_add_co_u32 v4, vcc, v0, 1                       // coord0.1: coord0 += d0*sg0*VW + vc0
v_cmp_lt_u32 s[54:55], v4, s[sgprSizeI]            // coord0 < size0
v_cmp_lt_u32 s[58:59], v1, s[sgprSizeJ]            // coord1 < size1
s_and_b64 s[58:59], s[54:55], s[58:59]             // in0 && in1
_v_add_lshl_u32 v95, v2, v4, 0x1                   // scaleToBpe: accumulate d0 lower and *= bpe into Cin addr
v_cndmask_b32 v95, -1, v95, s[58:59]               // LDC clip if OOB. offset
_v_add_lshl_u32 v94, v3, v4, 0x1                   // scaleToBpe: accumulate d0 lower and *= bpe into Cin addr
v_cndmask_b32 v94, -1, v94, s[58:59]               // LDD clip if OOB. offset
/* (d1,vc1,d0,vc0)=(1,1,0,2) */
_v_add_co_u32 v4, vcc, v0, 2                       // coord0.1: coord0 += d0*sg0*VW + vc0
	;; [unrolled: 9-line block ×3, first 2 shown]
v_cmp_lt_u32 s[54:55], v4, s[sgprSizeI]            // coord0 < size0
v_cmp_lt_u32 s[58:59], v1, s[sgprSizeJ]            // coord1 < size1
s_and_b64 s[58:59], s[54:55], s[58:59]             // in0 && in1
_v_add_lshl_u32 v103, v2, v4, 0x1                  // scaleToBpe: accumulate d0 lower and *= bpe into Cin addr
v_cndmask_b32 v103, -1, v103, s[58:59]             // LDC clip if OOB. offset
_v_add_lshl_u32 v102, v3, v4, 0x1                  // scaleToBpe: accumulate d0 lower and *= bpe into Cin addr
v_cndmask_b32 v102, -1, v102, s[58:59]             // LDD clip if OOB. offset
/* (d1,vc1,d0,vc0)=(1,1,1,0) */
_v_add_co_u32 v4, vcc, v0, 64                      // coord0.1: coord0 += d0*sg0*VW + vc0
v_cmp_lt_u32 s[54:55], v4, s[sgprSizeI]            // coord0 < size0
v_cmp_lt_u32 s[58:59], v1, s[sgprSizeJ]            // coord1 < size1
s_and_b64 s[58:59], s[54:55], s[58:59]             // in0 && in1
_v_add_lshl_u32 v107, v2, v4, 0x1                  // scaleToBpe: accumulate d0 lower and *= bpe into Cin addr
v_cndmask_b32 v107, -1, v107, s[58:59]             // LDC clip if OOB. offset
_v_add_lshl_u32 v106, v3, v4, 0x1                  // scaleToBpe: accumulate d0 lower and *= bpe into Cin addr
v_cndmask_b32 v106, -1, v106, s[58:59]             // LDD clip if OOB. offset
/* (d1,vc1,d0,vc0)=(1,1,1,1) */
s_mov_b32 s54, 65                                  // coordOffset0 d0=1 vc0=1
_v_add_co_u32 v4, vcc, v0, s54                     // coord0.2: coord0 += d0*sg0*VW + vc0
v_cmp_lt_u32 s[54:55], v4, s[sgprSizeI]            // coord0 < size0
v_cmp_lt_u32 s[58:59], v1, s[sgprSizeJ]            // coord1 < size1
s_and_b64 s[58:59], s[54:55], s[58:59]             // in0 && in1
_v_add_lshl_u32 v111, v2, v4, 0x1                  // scaleToBpe: accumulate d0 lower and *= bpe into Cin addr
v_cndmask_b32 v111, -1, v111, s[58:59]             // LDC clip if OOB. offset
_v_add_lshl_u32 v110, v3, v4, 0x1                  // scaleToBpe: accumulate d0 lower and *= bpe into Cin addr
v_cndmask_b32 v110, -1, v110, s[58:59]             // LDD clip if OOB. offset
/* (d1,vc1,d0,vc0)=(1,1,1,2) */
s_mov_b32 s54, 66                                  // coordOffset0 d0=1 vc0=2
_v_add_co_u32 v4, vcc, v0, s54                     // coord0.2: coord0 += d0*sg0*VW + vc0
	;; [unrolled: 10-line block ×3, first 2 shown]
v_cmp_lt_u32 s[54:55], v4, s[sgprSizeI]            // coord0 < size0
v_cmp_lt_u32 s[58:59], v1, s[sgprSizeJ]            // coord1 < size1
s_and_b64 s[58:59], s[54:55], s[58:59]             // in0 && in1
_v_add_lshl_u32 v122, v2, v4, 0x1                  // scaleToBpe: accumulate d0 lower and *= bpe into Cin addr
v_cndmask_b32 v122, -1, v122, s[58:59]             // LDC clip if OOB. offset
_v_add_lshl_u32 v121, v3, v4, 0x1                  // scaleToBpe: accumulate d0 lower and *= bpe into Cin addr
v_cndmask_b32 v121, -1, v121, s[58:59]             // LDD clip if OOB. offset
/* (d1,vc1,d0,vc0)=(1,1,2,0) */
s_mov_b32 s54, 128                                 // coordOffset0 d0=2 vc0=0
_v_add_co_u32 v4, vcc, v0, s54                     // coord0.2: coord0 += d0*sg0*VW + vc0
v_cmp_lt_u32 s[54:55], v4, s[sgprSizeI]            // coord0 < size0
v_cmp_lt_u32 s[58:59], v1, s[sgprSizeJ]            // coord1 < size1
s_and_b64 s[58:59], s[54:55], s[58:59]             // in0 && in1
_v_add_lshl_u32 v126, v2, v4, 0x1                  // scaleToBpe: accumulate d0 lower and *= bpe into Cin addr
v_cndmask_b32 v126, -1, v126, s[58:59]             // LDC clip if OOB. offset
_v_add_lshl_u32 v125, v3, v4, 0x1                  // scaleToBpe: accumulate d0 lower and *= bpe into Cin addr
v_cndmask_b32 v125, -1, v125, s[58:59]             // LDD clip if OOB. offset
/* (d1,vc1,d0,vc0)=(1,1,2,1) */
s_mov_b32 s54, 129                                 // coordOffset0 d0=2 vc0=1
_v_add_co_u32 v4, vcc, v0, s54                     // coord0.2: coord0 += d0*sg0*VW + vc0
	;; [unrolled: 10-line block ×8, first 2 shown]
v_cmp_lt_u32 s[54:55], v4, s[sgprSizeI]            // coord0 < size0
v_cmp_lt_u32 s[58:59], v1, s[sgprSizeJ]            // coord1 < size1
s_and_b64 s[58:59], s[54:55], s[58:59]             // in0 && in1
_v_add_lshl_u32 v154, v2, v4, 0x1                  // scaleToBpe: accumulate d0 lower and *= bpe into Cin addr
v_cndmask_b32 v154, -1, v154, s[58:59]             // LDC clip if OOB. offset
_v_add_lshl_u32 v153, v3, v4, 0x1                  // scaleToBpe: accumulate d0 lower and *= bpe into Cin addr
v_cndmask_b32 v153, -1, v153, s[58:59]             // LDD clip if OOB. offset
/* (d1,vc1,d0,vc0)=(1,2,0,0) */
_v_add_co_u32 v1, vcc, v1, 1                       // coord1.1: coord1Vgpr += d1*sg1*VW + vc1

/* Fix for UseInitialStridesCD, emitAddressSetupCode */
_v_add_u32 v2, v2, s[sgprStrideC1J]                // ROWINC- Move cinRowPtr to next row
_v_add_u32 v3, v3, s[sgprStrideD1J]                // Move coutRowPtr to next row
v_cmp_lt_u32 s[54:55], v0, s[sgprSizeI]            // coord0 < size0
v_cmp_lt_u32 s[58:59], v1, s[sgprSizeJ]            // coord1 < size1
s_and_b64 s[58:59], s[54:55], s[58:59]             // in0 && in1
_v_add_lshl_u32 v158, v2, v0, 0x1                  // scaleToBpe: accumulate d0 lower and *= bpe into Cin addr
v_cndmask_b32 v158, -1, v158, s[58:59]             // LDC clip if OOB. offset
_v_add_lshl_u32 v157, v3, v0, 0x1                  // scaleToBpe: accumulate d0 lower and *= bpe into Cin addr
v_cndmask_b32 v157, -1, v157, s[58:59]             // LDD clip if OOB. offset
/* (d1,vc1,d0,vc0)=(1,2,0,1) */
_v_add_co_u32 v4, vcc, v0, 1                       // coord0.1: coord0 += d0*sg0*VW + vc0
v_cmp_lt_u32 s[54:55], v4, s[sgprSizeI]            // coord0 < size0
v_cmp_lt_u32 s[58:59], v1, s[sgprSizeJ]            // coord1 < size1
s_and_b64 s[58:59], s[54:55], s[58:59]             // in0 && in1
_v_add_lshl_u32 v162, v2, v4, 0x1                  // scaleToBpe: accumulate d0 lower and *= bpe into Cin addr
v_cndmask_b32 v162, -1, v162, s[58:59]             // LDC clip if OOB. offset
_v_add_lshl_u32 v161, v3, v4, 0x1                  // scaleToBpe: accumulate d0 lower and *= bpe into Cin addr
v_cndmask_b32 v161, -1, v161, s[58:59]             // LDD clip if OOB. offset
/* (d1,vc1,d0,vc0)=(1,2,0,2) */
_v_add_co_u32 v4, vcc, v0, 2                       // coord0.1: coord0 += d0*sg0*VW + vc0
	;; [unrolled: 9-line block ×3, first 2 shown]
v_cmp_lt_u32 s[54:55], v4, s[sgprSizeI]            // coord0 < size0
v_cmp_lt_u32 s[58:59], v1, s[sgprSizeJ]            // coord1 < size1
s_and_b64 s[58:59], s[54:55], s[58:59]             // in0 && in1
_v_add_lshl_u32 v170, v2, v4, 0x1                  // scaleToBpe: accumulate d0 lower and *= bpe into Cin addr
v_cndmask_b32 v170, -1, v170, s[58:59]             // LDC clip if OOB. offset
_v_add_lshl_u32 v169, v3, v4, 0x1                  // scaleToBpe: accumulate d0 lower and *= bpe into Cin addr
v_cndmask_b32 v169, -1, v169, s[58:59]             // LDD clip if OOB. offset
/* (d1,vc1,d0,vc0)=(1,2,1,0) */
_v_add_co_u32 v4, vcc, v0, 64                      // coord0.1: coord0 += d0*sg0*VW + vc0
v_cmp_lt_u32 s[54:55], v4, s[sgprSizeI]            // coord0 < size0
v_cmp_lt_u32 s[58:59], v1, s[sgprSizeJ]            // coord1 < size1
s_and_b64 s[58:59], s[54:55], s[58:59]             // in0 && in1
_v_add_lshl_u32 v174, v2, v4, 0x1                  // scaleToBpe: accumulate d0 lower and *= bpe into Cin addr
v_cndmask_b32 v174, -1, v174, s[58:59]             // LDC clip if OOB. offset
_v_add_lshl_u32 v173, v3, v4, 0x1                  // scaleToBpe: accumulate d0 lower and *= bpe into Cin addr
v_cndmask_b32 v173, -1, v173, s[58:59]             // LDD clip if OOB. offset
/* (d1,vc1,d0,vc0)=(1,2,1,1) */
s_mov_b32 s54, 65                                  // coordOffset0 d0=1 vc0=1
_v_add_co_u32 v4, vcc, v0, s54                     // coord0.2: coord0 += d0*sg0*VW + vc0
v_cmp_lt_u32 s[54:55], v4, s[sgprSizeI]            // coord0 < size0
v_cmp_lt_u32 s[58:59], v1, s[sgprSizeJ]            // coord1 < size1
s_and_b64 s[58:59], s[54:55], s[58:59]             // in0 && in1
_v_add_lshl_u32 v178, v2, v4, 0x1                  // scaleToBpe: accumulate d0 lower and *= bpe into Cin addr
v_cndmask_b32 v178, -1, v178, s[58:59]             // LDC clip if OOB. offset
_v_add_lshl_u32 v177, v3, v4, 0x1                  // scaleToBpe: accumulate d0 lower and *= bpe into Cin addr
v_cndmask_b32 v177, -1, v177, s[58:59]             // LDD clip if OOB. offset
/* (d1,vc1,d0,vc0)=(1,2,1,2) */
s_mov_b32 s54, 66                                  // coordOffset0 d0=1 vc0=2
_v_add_co_u32 v4, vcc, v0, s54                     // coord0.2: coord0 += d0*sg0*VW + vc0
	;; [unrolled: 10-line block ×3, first 2 shown]
v_cmp_lt_u32 s[54:55], v4, s[sgprSizeI]            // coord0 < size0
v_cmp_lt_u32 s[58:59], v1, s[sgprSizeJ]            // coord1 < size1
s_and_b64 s[58:59], s[54:55], s[58:59]             // in0 && in1
_v_add_lshl_u32 v186, v2, v4, 0x1                  // scaleToBpe: accumulate d0 lower and *= bpe into Cin addr
v_cndmask_b32 v186, -1, v186, s[58:59]             // LDC clip if OOB. offset
_v_add_lshl_u32 v185, v3, v4, 0x1                  // scaleToBpe: accumulate d0 lower and *= bpe into Cin addr
v_cndmask_b32 v185, -1, v185, s[58:59]             // LDD clip if OOB. offset
/* (d1,vc1,d0,vc0)=(1,2,2,0) */
s_mov_b32 s54, 128                                 // coordOffset0 d0=2 vc0=0
_v_add_co_u32 v4, vcc, v0, s54                     // coord0.2: coord0 += d0*sg0*VW + vc0
v_cmp_lt_u32 s[54:55], v4, s[sgprSizeI]            // coord0 < size0
v_cmp_lt_u32 s[58:59], v1, s[sgprSizeJ]            // coord1 < size1
s_and_b64 s[58:59], s[54:55], s[58:59]             // in0 && in1
_v_add_lshl_u32 v190, v2, v4, 0x1                  // scaleToBpe: accumulate d0 lower and *= bpe into Cin addr
v_cndmask_b32 v190, -1, v190, s[58:59]             // LDC clip if OOB. offset
_v_add_lshl_u32 v189, v3, v4, 0x1                  // scaleToBpe: accumulate d0 lower and *= bpe into Cin addr
v_cndmask_b32 v189, -1, v189, s[58:59]             // LDD clip if OOB. offset
/* (d1,vc1,d0,vc0)=(1,2,2,1) */
s_mov_b32 s54, 129                                 // coordOffset0 d0=2 vc0=1
_v_add_co_u32 v4, vcc, v0, s54                     // coord0.2: coord0 += d0*sg0*VW + vc0
v_cmp_lt_u32 s[54:55], v4, s[sgprSizeI]            // coord0 < size0
v_cmp_lt_u32 s[58:59], v1, s[sgprSizeJ]            // coord1 < size1
s_and_b64 s[58:59], s[54:55], s[58:59]             // in0 && in1
_v_add_lshl_u32 v194, v2, v4, 0x1                  // scaleToBpe: accumulate d0 lower and *= bpe into Cin addr
v_cndmask_b32 v194, -1, v194, s[58:59]             // LDC clip if OOB. offset
_v_add_lshl_u32 v193, v3, v4, 0x1                  // scaleToBpe: accumulate d0 lower and *= bpe into Cin addr
v_cndmask_b32 v193, -1, v193, s[58:59]             // LDD clip if OOB. offset
/* (d1,vc1,d0,vc0)=(1,2,2,2) */
s_mov_b32 s54, 130                                 // coordOffset0 d0=2 vc0=2
_v_add_co_u32 v4, vcc, v0, s54                     // coord0.2: coord0 += d0*sg0*VW + vc0
v_cmp_lt_u32 s[54:55], v4, s[sgprSizeI]            // coord0 < size0
v_cmp_lt_u32 s[58:59], v1, s[sgprSizeJ]            // coord1 < size1
s_and_b64 s[58:59], s[54:55], s[58:59]             // in0 && in1
_v_add_lshl_u32 v198, v2, v4, 0x1                  // scaleToBpe: accumulate d0 lower and *= bpe into Cin addr
v_cndmask_b32 v198, -1, v198, s[58:59]             // LDC clip if OOB. offset
_v_add_lshl_u32 v197, v3, v4, 0x1                  // scaleToBpe: accumulate d0 lower and *= bpe into Cin addr
v_cndmask_b32 v197, -1, v197, s[58:59]             // LDD clip if OOB. offset
/* (d1,vc1,d0,vc0)=(1,2,2,3) */
s_mov_b32 s54, 131                                 // coordOffset0 d0=2 vc0=3
_v_add_co_u32 v4, vcc, v0, s54                     // coord0.2: coord0 += d0*sg0*VW + vc0
v_cmp_lt_u32 s[54:55], v4, s[sgprSizeI]            // coord0 < size0
v_cmp_lt_u32 s[58:59], v1, s[sgprSizeJ]            // coord1 < size1
s_and_b64 s[58:59], s[54:55], s[58:59]             // in0 && in1
_v_add_lshl_u32 v202, v2, v4, 0x1                  // scaleToBpe: accumulate d0 lower and *= bpe into Cin addr
v_cndmask_b32 v202, -1, v202, s[58:59]             // LDC clip if OOB. offset
_v_add_lshl_u32 v201, v3, v4, 0x1                  // scaleToBpe: accumulate d0 lower and *= bpe into Cin addr
v_cndmask_b32 v201, -1, v201, s[58:59]             // LDD clip if OOB. offset
/* (d1,vc1,d0,vc0)=(1,2,3,0) */
s_mov_b32 s54, 192                                 // coordOffset0 d0=3 vc0=0
_v_add_co_u32 v4, vcc, v0, s54                     // coord0.2: coord0 += d0*sg0*VW + vc0
v_cmp_lt_u32 s[54:55], v4, s[sgprSizeI]            // coord0 < size0
v_cmp_lt_u32 s[58:59], v1, s[sgprSizeJ]            // coord1 < size1
s_and_b64 s[58:59], s[54:55], s[58:59]             // in0 && in1
_v_add_lshl_u32 v206, v2, v4, 0x1                  // scaleToBpe: accumulate d0 lower and *= bpe into Cin addr
v_cndmask_b32 v206, -1, v206, s[58:59]             // LDC clip if OOB. offset
_v_add_lshl_u32 v205, v3, v4, 0x1                  // scaleToBpe: accumulate d0 lower and *= bpe into Cin addr
v_cndmask_b32 v205, -1, v205, s[58:59]             // LDD clip if OOB. offset
/* (d1,vc1,d0,vc0)=(1,2,3,1) */
s_mov_b32 s54, 193                                 // coordOffset0 d0=3 vc0=1
_v_add_co_u32 v4, vcc, v0, s54                     // coord0.2: coord0 += d0*sg0*VW + vc0
v_cmp_lt_u32 s[54:55], v4, s[sgprSizeI]            // coord0 < size0
v_cmp_lt_u32 s[58:59], v1, s[sgprSizeJ]            // coord1 < size1
s_and_b64 s[58:59], s[54:55], s[58:59]             // in0 && in1
_v_add_lshl_u32 v210, v2, v4, 0x1                  // scaleToBpe: accumulate d0 lower and *= bpe into Cin addr
v_cndmask_b32 v210, -1, v210, s[58:59]             // LDC clip if OOB. offset
_v_add_lshl_u32 v209, v3, v4, 0x1                  // scaleToBpe: accumulate d0 lower and *= bpe into Cin addr
v_cndmask_b32 v209, -1, v209, s[58:59]             // LDD clip if OOB. offset
/* (d1,vc1,d0,vc0)=(1,2,3,2) */
s_mov_b32 s54, 194                                 // coordOffset0 d0=3 vc0=2
_v_add_co_u32 v4, vcc, v0, s54                     // coord0.2: coord0 += d0*sg0*VW + vc0
v_cmp_lt_u32 s[54:55], v4, s[sgprSizeI]            // coord0 < size0
v_cmp_lt_u32 s[58:59], v1, s[sgprSizeJ]            // coord1 < size1
s_and_b64 s[58:59], s[54:55], s[58:59]             // in0 && in1
_v_add_lshl_u32 v214, v2, v4, 0x1                  // scaleToBpe: accumulate d0 lower and *= bpe into Cin addr
v_cndmask_b32 v214, -1, v214, s[58:59]             // LDC clip if OOB. offset
_v_add_lshl_u32 v213, v3, v4, 0x1                  // scaleToBpe: accumulate d0 lower and *= bpe into Cin addr
v_cndmask_b32 v213, -1, v213, s[58:59]             // LDD clip if OOB. offset
/* (d1,vc1,d0,vc0)=(1,2,3,3) */
s_mov_b32 s54, 195                                 // coordOffset0 d0=3 vc0=3
_v_add_co_u32 v4, vcc, v0, s54                     // coord0.2: coord0 += d0*sg0*VW + vc0
v_cmp_lt_u32 s[54:55], v4, s[sgprSizeI]            // coord0 < size0
v_cmp_lt_u32 s[58:59], v1, s[sgprSizeJ]            // coord1 < size1
s_and_b64 s[58:59], s[54:55], s[58:59]             // in0 && in1
_v_add_lshl_u32 v218, v2, v4, 0x1                  // scaleToBpe: accumulate d0 lower and *= bpe into Cin addr
v_cndmask_b32 v218, -1, v218, s[58:59]             // LDC clip if OOB. offset
_v_add_lshl_u32 v217, v3, v4, 0x1                  // scaleToBpe: accumulate d0 lower and *= bpe into Cin addr
v_cndmask_b32 v217, -1, v217, s[58:59]             // LDD clip if OOB. offset
/* (d1,vc1,d0,vc0)=(1,3,0,0) */
_v_add_co_u32 v1, vcc, v1, 1                       // coord1.1: coord1Vgpr += d1*sg1*VW + vc1

/* Fix for UseInitialStridesCD, emitAddressSetupCode */
_v_add_u32 v2, v2, s[sgprStrideC1J]                // ROWINC- Move cinRowPtr to next row
_v_add_u32 v3, v3, s[sgprStrideD1J]                // Move coutRowPtr to next row
v_cmp_lt_u32 s[54:55], v0, s[sgprSizeI]            // coord0 < size0
v_cmp_lt_u32 s[58:59], v1, s[sgprSizeJ]            // coord1 < size1
s_and_b64 s[58:59], s[54:55], s[58:59]             // in0 && in1
_v_add_lshl_u32 v222, v2, v0, 0x1                  // scaleToBpe: accumulate d0 lower and *= bpe into Cin addr
v_cndmask_b32 v222, -1, v222, s[58:59]             // LDC clip if OOB. offset
_v_add_lshl_u32 v221, v3, v0, 0x1                  // scaleToBpe: accumulate d0 lower and *= bpe into Cin addr
v_cndmask_b32 v221, -1, v221, s[58:59]             // LDD clip if OOB. offset
/* (d1,vc1,d0,vc0)=(1,3,0,1) */
_v_add_co_u32 v4, vcc, v0, 1                       // coord0.1: coord0 += d0*sg0*VW + vc0
v_cmp_lt_u32 s[54:55], v4, s[sgprSizeI]            // coord0 < size0
v_cmp_lt_u32 s[58:59], v1, s[sgprSizeJ]            // coord1 < size1
s_and_b64 s[58:59], s[54:55], s[58:59]             // in0 && in1
_v_add_lshl_u32 v226, v2, v4, 0x1                  // scaleToBpe: accumulate d0 lower and *= bpe into Cin addr
v_cndmask_b32 v226, -1, v226, s[58:59]             // LDC clip if OOB. offset
_v_add_lshl_u32 v225, v3, v4, 0x1                  // scaleToBpe: accumulate d0 lower and *= bpe into Cin addr
v_cndmask_b32 v225, -1, v225, s[58:59]             // LDD clip if OOB. offset
/* (d1,vc1,d0,vc0)=(1,3,0,2) */
_v_add_co_u32 v4, vcc, v0, 2                       // coord0.1: coord0 += d0*sg0*VW + vc0
	;; [unrolled: 9-line block ×3, first 2 shown]
v_cmp_lt_u32 s[54:55], v4, s[sgprSizeI]            // coord0 < size0
v_cmp_lt_u32 s[58:59], v1, s[sgprSizeJ]            // coord1 < size1
s_and_b64 s[58:59], s[54:55], s[58:59]             // in0 && in1
_v_add_lshl_u32 v234, v2, v4, 0x1                  // scaleToBpe: accumulate d0 lower and *= bpe into Cin addr
v_cndmask_b32 v234, -1, v234, s[58:59]             // LDC clip if OOB. offset
_v_add_lshl_u32 v233, v3, v4, 0x1                  // scaleToBpe: accumulate d0 lower and *= bpe into Cin addr
v_cndmask_b32 v233, -1, v233, s[58:59]             // LDD clip if OOB. offset
/* (d1,vc1,d0,vc0)=(1,3,1,0) */
_v_add_co_u32 v4, vcc, v0, 64                      // coord0.1: coord0 += d0*sg0*VW + vc0
v_cmp_lt_u32 s[54:55], v4, s[sgprSizeI]            // coord0 < size0
v_cmp_lt_u32 s[58:59], v1, s[sgprSizeJ]            // coord1 < size1
s_and_b64 s[58:59], s[54:55], s[58:59]             // in0 && in1
_v_add_lshl_u32 v238, v2, v4, 0x1                  // scaleToBpe: accumulate d0 lower and *= bpe into Cin addr
v_cndmask_b32 v238, -1, v238, s[58:59]             // LDC clip if OOB. offset
_v_add_lshl_u32 v237, v3, v4, 0x1                  // scaleToBpe: accumulate d0 lower and *= bpe into Cin addr
v_cndmask_b32 v237, -1, v237, s[58:59]             // LDD clip if OOB. offset
/* (d1,vc1,d0,vc0)=(1,3,1,1) */
s_mov_b32 s54, 65                                  // coordOffset0 d0=1 vc0=1
_v_add_co_u32 v4, vcc, v0, s54                     // coord0.2: coord0 += d0*sg0*VW + vc0
v_cmp_lt_u32 s[54:55], v4, s[sgprSizeI]            // coord0 < size0
v_cmp_lt_u32 s[58:59], v1, s[sgprSizeJ]            // coord1 < size1
s_and_b64 s[58:59], s[54:55], s[58:59]             // in0 && in1
_v_add_lshl_u32 v242, v2, v4, 0x1                  // scaleToBpe: accumulate d0 lower and *= bpe into Cin addr
v_cndmask_b32 v242, -1, v242, s[58:59]             // LDC clip if OOB. offset
_v_add_lshl_u32 v241, v3, v4, 0x1                  // scaleToBpe: accumulate d0 lower and *= bpe into Cin addr
v_cndmask_b32 v241, -1, v241, s[58:59]             // LDD clip if OOB. offset
/* (d1,vc1,d0,vc0)=(1,3,1,2) */
s_mov_b32 s54, 66                                  // coordOffset0 d0=1 vc0=2
_v_add_co_u32 v4, vcc, v0, s54                     // coord0.2: coord0 += d0*sg0*VW + vc0
	;; [unrolled: 10-line block ×3, first 2 shown]
v_cmp_lt_u32 s[54:55], v4, s[sgprSizeI]            // coord0 < size0
v_cmp_lt_u32 s[58:59], v1, s[sgprSizeJ]            // coord1 < size1
s_and_b64 s[58:59], s[54:55], s[58:59]             // in0 && in1
_v_add_lshl_u32 v250, v2, v4, 0x1                  // scaleToBpe: accumulate d0 lower and *= bpe into Cin addr
v_cndmask_b32 v250, -1, v250, s[58:59]             // LDC clip if OOB. offset
_v_add_lshl_u32 v249, v3, v4, 0x1                  // scaleToBpe: accumulate d0 lower and *= bpe into Cin addr
v_cndmask_b32 v249, -1, v249, s[58:59]             // LDD clip if OOB. offset
_buffer_load_d16_b16 v12, v11, s[sgprSrdC:sgprSrdC+3], 0, offen offset:0,  sc0 sc1 // load C for beta calc
_buffer_load_d16_b16 v16, v15, s[sgprSrdC:sgprSrdC+3], 0, offen offset:0,  sc0 sc1 // load C for beta calc
	;; [unrolled: 1-line block ×60, first 2 shown]
s_sleep 5 // optimization: sync and wait
s_barrier
v_accvgpr_read_b32 v[vgprValuC+13], acc51 // copy acc to vreg[60]
v_accvgpr_read_b32 v[vgprValuC+17], acc55 // copy acc to vreg[61]
v_accvgpr_read_b32 v[vgprValuC+21], acc59 // copy acc to vreg[62]
v_accvgpr_read_b32 v[vgprValuC+25], acc63 // copy acc to vreg[63]
v_accvgpr_read_b32 v[vgprValuC+29], acc64 // copy acc to vreg[64]
v_accvgpr_read_b32 v[vgprValuC+33], acc68 // copy acc to vreg[65]
v_accvgpr_read_b32 v[vgprValuC+37], acc72 // copy acc to vreg[66]
v_accvgpr_read_b32 v[vgprValuC+41], acc76 // copy acc to vreg[67]
v_accvgpr_read_b32 v[vgprValuC+45], acc80 // copy acc to vreg[68]
v_accvgpr_read_b32 v[vgprValuC+49], acc84 // copy acc to vreg[69]
v_accvgpr_read_b32 v[vgprValuC+53], acc88 // copy acc to vreg[70]
v_accvgpr_read_b32 v[vgprValuC+57], acc92 // copy acc to vreg[71]
v_accvgpr_read_b32 v[vgprValuC+61], acc96 // copy acc to vreg[72]
v_accvgpr_read_b32 v[vgprValuC+65], acc100 // copy acc to vreg[73]
v_accvgpr_read_b32 v[vgprValuC+69], acc104 // copy acc to vreg[74]
v_accvgpr_read_b32 v[vgprValuC+73], acc108 // copy acc to vreg[75]
v_accvgpr_read_b32 v[vgprValuC+77], acc112 // copy acc to vreg[76]
v_accvgpr_read_b32 v[vgprValuC+81], acc116 // copy acc to vreg[77]
v_accvgpr_read_b32 v[vgprValuC+85], acc120 // copy acc to vreg[78]
v_accvgpr_read_b32 v[vgprValuC+89], acc124 // copy acc to vreg[79]
v_accvgpr_read_b32 v[vgprValuC+93], acc65 // copy acc to vreg[80]
v_accvgpr_read_b32 v[vgprValuC+97], acc69 // copy acc to vreg[81]
v_accvgpr_read_b32 v[vgprValuC+101], acc73 // copy acc to vreg[82]
v_accvgpr_read_b32 v[vgprValuC+105], acc77 // copy acc to vreg[83]
v_accvgpr_read_b32 v[vgprValuC+109], acc81 // copy acc to vreg[84]
v_accvgpr_read_b32 v[vgprValuC+113], acc85 // copy acc to vreg[85]
v_accvgpr_read_b32 v[vgprValuC+120], acc89 // copy acc to vreg[86]
v_accvgpr_read_b32 v[vgprValuC+124], acc93 // copy acc to vreg[87]
v_accvgpr_read_b32 v[vgprValuC+128], acc97 // copy acc to vreg[88]
v_accvgpr_read_b32 v[vgprValuC+132], acc101 // copy acc to vreg[89]
v_accvgpr_read_b32 v[vgprValuC+136], acc105 // copy acc to vreg[90]
v_accvgpr_read_b32 v[vgprValuC+140], acc109 // copy acc to vreg[91]
v_accvgpr_read_b32 v[vgprValuC+144], acc113 // copy acc to vreg[92]
v_accvgpr_read_b32 v[vgprValuC+148], acc117 // copy acc to vreg[93]
v_accvgpr_read_b32 v[vgprValuC+152], acc121 // copy acc to vreg[94]
v_accvgpr_read_b32 v[vgprValuC+156], acc125 // copy acc to vreg[95]
v_accvgpr_read_b32 v[vgprValuC+160], acc66 // copy acc to vreg[96]
v_accvgpr_read_b32 v[vgprValuC+164], acc70 // copy acc to vreg[97]
v_accvgpr_read_b32 v[vgprValuC+168], acc74 // copy acc to vreg[98]
v_accvgpr_read_b32 v[vgprValuC+172], acc78 // copy acc to vreg[99]
v_accvgpr_read_b32 v[vgprValuC+176], acc82 // copy acc to vreg[100]
v_accvgpr_read_b32 v[vgprValuC+180], acc86 // copy acc to vreg[101]
v_accvgpr_read_b32 v[vgprValuC+184], acc90 // copy acc to vreg[102]
v_accvgpr_read_b32 v[vgprValuC+188], acc94 // copy acc to vreg[103]
v_accvgpr_read_b32 v[vgprValuC+192], acc98 // copy acc to vreg[104]
v_accvgpr_read_b32 v[vgprValuC+196], acc102 // copy acc to vreg[105]
v_accvgpr_read_b32 v[vgprValuC+200], acc106 // copy acc to vreg[106]
v_accvgpr_read_b32 v[vgprValuC+204], acc110 // copy acc to vreg[107]
v_accvgpr_read_b32 v[vgprValuC+208], acc114 // copy acc to vreg[108]
v_accvgpr_read_b32 v[vgprValuC+212], acc118 // copy acc to vreg[109]
v_accvgpr_read_b32 v[vgprValuC+216], acc122 // copy acc to vreg[110]
v_accvgpr_read_b32 v[vgprValuC+220], acc126 // copy acc to vreg[111]
v_accvgpr_read_b32 v[vgprValuC+224], acc67 // copy acc to vreg[112]
v_accvgpr_read_b32 v[vgprValuC+228], acc71 // copy acc to vreg[113]
v_accvgpr_read_b32 v[vgprValuC+232], acc75 // copy acc to vreg[114]
v_accvgpr_read_b32 v[vgprValuC+236], acc79 // copy acc to vreg[115]
v_accvgpr_read_b32 v[vgprValuC+240], acc83 // copy acc to vreg[116]
v_accvgpr_read_b32 v[vgprValuC+244], acc87 // copy acc to vreg[117]
v_accvgpr_read_b32 v[vgprValuC+248], acc91 // copy acc to vreg[118]
v_accvgpr_read_b32 v[vgprValuC+252], acc95 // copy acc to vreg[119]
s_nop 1                                            // 2 wait states required before reading vgpr

/* rC *= alpha batchElements=[(0, 3, 3, 0), (0, 3, 3, 1), (0, 3, 3, 2), (0, 3, 3, 3), (1, 0, 0, 0), (1, 0, 0, 1), (1, 0, 0, 2), (1, 0, 0, 3), (1, 1, 0, 0), (1, 1, 0, 1), (1, 1, 0, 2), (1, 1, 0, 3), (1, 2, 0, 0), (1, 2, 0, 1), (1, 2, 0, 2), (1, 2, 0, 3), (1, 3, 0, 0), (1, 3, 0, 1), (1, 3, 0, 2), (1, 3, 0, 3), (1, 0, 1, 0), (1, 0, 1, 1), (1, 0, 1, 2), (1, 0, 1, 3), (1, 1, 1, 0), (1, 1, 1, 1), (1, 1, 1, 2), (1, 1, 1, 3), (1, 2, 1, 0), (1, 2, 1, 1), (1, 2, 1, 2), (1, 2, 1, 3), (1, 3, 1, 0), (1, 3, 1, 1), (1, 3, 1, 2), (1, 3, 1, 3), (1, 0, 2, 0), (1, 0, 2, 1), (1, 0, 2, 2), (1, 0, 2, 3), (1, 1, 2, 0), (1, 1, 2, 1), (1, 1, 2, 2), (1, 1, 2, 3), (1, 2, 2, 0), (1, 2, 2, 1), (1, 2, 2, 2), (1, 2, 2, 3), (1, 3, 2, 0), (1, 3, 2, 1), (1, 3, 2, 2), (1, 3, 2, 3), (1, 0, 3, 0), (1, 0, 3, 1), (1, 0, 3, 2), (1, 0, 3, 3), (1, 1, 3, 0), (1, 1, 3, 1), (1, 1, 3, 2), (1, 1, 3, 3)] */
v_mul_f32 v[vgprValuC+13], s[sgprAlpha], v[vgprValuC+13] // *= alpha
v_mul_f32 v[vgprValuC+17], s[sgprAlpha], v[vgprValuC+17] // *= alpha
	;; [unrolled: 1-line block ×60, first 2 shown]
s_waitcnt vmcnt(0)                                 // wait C

/* apply mask, calc new C and issue writes */
v_mov_b32 v7, 0xffff0000                           // mask for pack two bfloat16 element to 32bit
v_mov_b32 v8, 0x7fff0000                           // fp32 Nan
v_mov_b32 v9, 0x7fff                               // rounding bias for bfloat16
v_lshlrev_b32 v4, 16, v12                          // convert bf16 to fp32
_v_mac_f32 v[vgprValuC+13], v4, s[sgprBeta]        // finalSum = sum*alpha + C*beta
v_cmp_u_f32 s[54:55], v[vgprValuC+13], v[vgprValuC+13] // check Nan
v_bfe_u32 v6, v[vgprValuC+13], 16, 1               // Non-Nan case: store lsb of bf16
v_add3_u32 v6, v[vgprValuC+13], v6, v9             // Non-Nan case: add lsb and the increment for rounding
v_cndmask_b32 v[vgprValuC+13], v6, v8, s[54:55]    // 
v_lshrrev_b32 v[vgprValuC+13], 16, v[vgprValuC+13] // convert C to bf16
v_lshlrev_b32 v4, 16, v16                          // convert bf16 to fp32
_v_mac_f32 v[vgprValuC+17], v4, s[sgprBeta]        // finalSum = sum*alpha + C*beta
v_cmp_u_f32 s[54:55], v[vgprValuC+17], v[vgprValuC+17] // check Nan
v_bfe_u32 v6, v[vgprValuC+17], 16, 1               // Non-Nan case: store lsb of bf16
v_add3_u32 v6, v[vgprValuC+17], v6, v9             // Non-Nan case: add lsb and the increment for rounding
v_cndmask_b32 v[vgprValuC+17], v6, v8, s[54:55]    // 
v_lshrrev_b32 v[vgprValuC+17], 16, v[vgprValuC+17] // convert C to bf16
	;; [unrolled: 7-line block ×22, first 2 shown]
v_lshlrev_b32 v4, 16, v100                         // convert bf16 to fp32
_v_mac_f32 v[vgprValuC+101], v4, s[sgprBeta]       // finalSum = sum*alpha + C*beta
v_cmp_u_f32 s[54:55], v[vgprValuC+101], v[vgprValuC+101] // check Nan
v_bfe_u32 v6, v[vgprValuC+101], 16, 1              // Non-Nan case: store lsb of bf16
v_add3_u32 v6, v[vgprValuC+101], v6, v9            // Non-Nan case: add lsb and the increment for rounding
v_cndmask_b32 v[vgprValuC+101], v6, v8, s[54:55]   // 
v_lshrrev_b32 v[vgprValuC+101], 16, v[vgprValuC+101] // convert C to bf16
v_lshlrev_b32 v4, 16, v104                         // convert bf16 to fp32
_v_mac_f32 v[vgprValuC+105], v4, s[sgprBeta]       // finalSum = sum*alpha + C*beta
v_cmp_u_f32 s[54:55], v[vgprValuC+105], v[vgprValuC+105] // check Nan
v_bfe_u32 v6, v[vgprValuC+105], 16, 1              // Non-Nan case: store lsb of bf16
v_add3_u32 v6, v[vgprValuC+105], v6, v9            // Non-Nan case: add lsb and the increment for rounding
v_cndmask_b32 v[vgprValuC+105], v6, v8, s[54:55]   // 
v_lshrrev_b32 v[vgprValuC+105], 16, v[vgprValuC+105] // convert C to bf16
	;; [unrolled: 7-line block ×38, first 2 shown]
_buffer_store_b16 v13, v10, s[sgprSrdD:sgprSrdD+3], 0, offen, offset:0,  sc0 sc1 // store D
_buffer_store_b16 v17, v14, s[sgprSrdD:sgprSrdD+3], 0, offen, offset:0,  sc0 sc1 // store D
	;; [unrolled: 1-line block ×60, first 2 shown]
s_nop 0                                            // 1 wait state required when next inst writes vgprs held by previous dwordx4 store inst
/* optSingleColVgpr=0 optSharedColVgpr=0 optSGPRUsage=BufferLoad_Edge_Mask optSrdIncForRow=0 */
s_sleep 5 // optimization: sync and wait
s_barrier

/******************************************/
/* Global Write Alpha Beta Edge Batch #2 (d1,d0,vc1,vc0) = */
/*    (1,2,3,0:vw1); (1,2,3,1:vw1); (1,2,3,2:vw1); (1,2,3,3:vw1); (1,3,3,0:vw1); (1,3,3,1:vw1); (1,3,3,2:vw1); (1,3,3,3:vw1); (2,0,0,0:vw1); (2,0,0,1:vw1); (2,0,0,2:vw1); (2,0,0,3:vw1); (2,1,0,0:vw1); (2,1,0,1:vw1); (2,1,0,2:vw1); (2,1,0,3:vw1); (2,2,0,0:vw1); (2,2,0,1:vw1); (2,2,0,2:vw1); (2,2,0,3:vw1); (2,3,0,0:vw1); (2,3,0,1:vw1); (2,3,0,2:vw1); (2,3,0,3:vw1); (2,0,1,0:vw1); (2,0,1,1:vw1); (2,0,1,2:vw1); (2,0,1,3:vw1); (2,1,1,0:vw1); (2,1,1,1:vw1); (2,1,1,2:vw1); (2,1,1,3:vw1); (2,2,1,0:vw1); (2,2,1,1:vw1); (2,2,1,2:vw1); (2,2,1,3:vw1); (2,3,1,0:vw1); (2,3,1,1:vw1); (2,3,1,2:vw1); (2,3,1,3:vw1); (2,0,2,0:vw1); (2,0,2,1:vw1); (2,0,2,2:vw1); (2,0,2,3:vw1); (2,1,2,0:vw1); (2,1,2,1:vw1); (2,1,2,2:vw1); (2,1,2,3:vw1); (2,2,2,0:vw1); (2,2,2,1:vw1); (2,2,2,2:vw1); (2,2,2,3:vw1); (2,3,2,0:vw1); (2,3,2,1:vw1); (2,3,2,2:vw1); (2,3,2,3:vw1); (2,0,3,0:vw1); (2,0,3,1:vw1); (2,0,3,2:vw1); (2,0,3,3:vw1) */
/******************************************/

/* calc coords, apply mask, and issue loads (if necessary) */
/* (d1,vc1,d0,vc0)=(1,3,2,0) */
s_mov_b32 s54, 128                                 // coordOffset0 d0=2 vc0=0
_v_add_co_u32 v4, vcc, v0, s54                     // coord0.2: coord0 += d0*sg0*VW + vc0
v_cmp_lt_u32 s[54:55], v4, s[sgprSizeI]            // coord0 < size0
v_cmp_lt_u32 s[58:59], v1, s[sgprSizeJ]            // coord1 < size1
s_and_b64 s[58:59], s[54:55], s[58:59]             // in0 && in1
_v_add_lshl_u32 v11, v2, v4, 0x1                   // scaleToBpe: accumulate d0 lower and *= bpe into Cin addr
v_cndmask_b32 v11, -1, v11, s[58:59]               // LDC clip if OOB. offset
_v_add_lshl_u32 v10, v3, v4, 0x1                   // scaleToBpe: accumulate d0 lower and *= bpe into Cin addr
v_cndmask_b32 v10, -1, v10, s[58:59]               // LDD clip if OOB. offset
/* (d1,vc1,d0,vc0)=(1,3,2,1) */
s_mov_b32 s54, 129                                 // coordOffset0 d0=2 vc0=1
_v_add_co_u32 v4, vcc, v0, s54                     // coord0.2: coord0 += d0*sg0*VW + vc0
v_cmp_lt_u32 s[54:55], v4, s[sgprSizeI]            // coord0 < size0
v_cmp_lt_u32 s[58:59], v1, s[sgprSizeJ]            // coord1 < size1
s_and_b64 s[58:59], s[54:55], s[58:59]             // in0 && in1
_v_add_lshl_u32 v15, v2, v4, 0x1                   // scaleToBpe: accumulate d0 lower and *= bpe into Cin addr
v_cndmask_b32 v15, -1, v15, s[58:59]               // LDC clip if OOB. offset
_v_add_lshl_u32 v14, v3, v4, 0x1                   // scaleToBpe: accumulate d0 lower and *= bpe into Cin addr
v_cndmask_b32 v14, -1, v14, s[58:59]               // LDD clip if OOB. offset
	;; [unrolled: 10-line block ×8, first 2 shown]
/* (d1,vc1,d0,vc0)=(2,0,0,0) */
_v_add_co_u32 v1, vcc, v1, 61                      // coord1.1: coord1Vgpr += d1*sg1*VW + vc1

/* Fix for UseInitialStridesCD, emitAddressSetupCode */
s_mul_i32 s54, s[sgprStrideC1J], 61                // scale stride
_v_add_u32 v2, v2, s54                             // ROWINC- Move cinRowPtr to next row
s_mul_i32 s54, s[sgprStrideD1J], 61                // scale stride
_v_add_u32 v3, v3, s54                             // Move coutRowPtr to next row
v_cmp_lt_u32 s[54:55], v0, s[sgprSizeI]            // coord0 < size0
v_cmp_lt_u32 s[58:59], v1, s[sgprSizeJ]            // coord1 < size1
s_and_b64 s[58:59], s[54:55], s[58:59]             // in0 && in1
_v_add_lshl_u32 v43, v2, v0, 0x1                   // scaleToBpe: accumulate d0 lower and *= bpe into Cin addr
v_cndmask_b32 v43, -1, v43, s[58:59]               // LDC clip if OOB. offset
_v_add_lshl_u32 v42, v3, v0, 0x1                   // scaleToBpe: accumulate d0 lower and *= bpe into Cin addr
v_cndmask_b32 v42, -1, v42, s[58:59]               // LDD clip if OOB. offset
/* (d1,vc1,d0,vc0)=(2,0,0,1) */
_v_add_co_u32 v4, vcc, v0, 1                       // coord0.1: coord0 += d0*sg0*VW + vc0
v_cmp_lt_u32 s[54:55], v4, s[sgprSizeI]            // coord0 < size0
v_cmp_lt_u32 s[58:59], v1, s[sgprSizeJ]            // coord1 < size1
s_and_b64 s[58:59], s[54:55], s[58:59]             // in0 && in1
_v_add_lshl_u32 v47, v2, v4, 0x1                   // scaleToBpe: accumulate d0 lower and *= bpe into Cin addr
v_cndmask_b32 v47, -1, v47, s[58:59]               // LDC clip if OOB. offset
_v_add_lshl_u32 v46, v3, v4, 0x1                   // scaleToBpe: accumulate d0 lower and *= bpe into Cin addr
v_cndmask_b32 v46, -1, v46, s[58:59]               // LDD clip if OOB. offset
/* (d1,vc1,d0,vc0)=(2,0,0,2) */
_v_add_co_u32 v4, vcc, v0, 2                       // coord0.1: coord0 += d0*sg0*VW + vc0
	;; [unrolled: 9-line block ×3, first 2 shown]
v_cmp_lt_u32 s[54:55], v4, s[sgprSizeI]            // coord0 < size0
v_cmp_lt_u32 s[58:59], v1, s[sgprSizeJ]            // coord1 < size1
s_and_b64 s[58:59], s[54:55], s[58:59]             // in0 && in1
_v_add_lshl_u32 v55, v2, v4, 0x1                   // scaleToBpe: accumulate d0 lower and *= bpe into Cin addr
v_cndmask_b32 v55, -1, v55, s[58:59]               // LDC clip if OOB. offset
_v_add_lshl_u32 v54, v3, v4, 0x1                   // scaleToBpe: accumulate d0 lower and *= bpe into Cin addr
v_cndmask_b32 v54, -1, v54, s[58:59]               // LDD clip if OOB. offset
/* (d1,vc1,d0,vc0)=(2,0,1,0) */
_v_add_co_u32 v4, vcc, v0, 64                      // coord0.1: coord0 += d0*sg0*VW + vc0
v_cmp_lt_u32 s[54:55], v4, s[sgprSizeI]            // coord0 < size0
v_cmp_lt_u32 s[58:59], v1, s[sgprSizeJ]            // coord1 < size1
s_and_b64 s[58:59], s[54:55], s[58:59]             // in0 && in1
_v_add_lshl_u32 v59, v2, v4, 0x1                   // scaleToBpe: accumulate d0 lower and *= bpe into Cin addr
v_cndmask_b32 v59, -1, v59, s[58:59]               // LDC clip if OOB. offset
_v_add_lshl_u32 v58, v3, v4, 0x1                   // scaleToBpe: accumulate d0 lower and *= bpe into Cin addr
v_cndmask_b32 v58, -1, v58, s[58:59]               // LDD clip if OOB. offset
/* (d1,vc1,d0,vc0)=(2,0,1,1) */
s_mov_b32 s54, 65                                  // coordOffset0 d0=1 vc0=1
_v_add_co_u32 v4, vcc, v0, s54                     // coord0.2: coord0 += d0*sg0*VW + vc0
v_cmp_lt_u32 s[54:55], v4, s[sgprSizeI]            // coord0 < size0
v_cmp_lt_u32 s[58:59], v1, s[sgprSizeJ]            // coord1 < size1
s_and_b64 s[58:59], s[54:55], s[58:59]             // in0 && in1
_v_add_lshl_u32 v63, v2, v4, 0x1                   // scaleToBpe: accumulate d0 lower and *= bpe into Cin addr
v_cndmask_b32 v63, -1, v63, s[58:59]               // LDC clip if OOB. offset
_v_add_lshl_u32 v62, v3, v4, 0x1                   // scaleToBpe: accumulate d0 lower and *= bpe into Cin addr
v_cndmask_b32 v62, -1, v62, s[58:59]               // LDD clip if OOB. offset
/* (d1,vc1,d0,vc0)=(2,0,1,2) */
s_mov_b32 s54, 66                                  // coordOffset0 d0=1 vc0=2
_v_add_co_u32 v4, vcc, v0, s54                     // coord0.2: coord0 += d0*sg0*VW + vc0
	;; [unrolled: 10-line block ×3, first 2 shown]
v_cmp_lt_u32 s[54:55], v4, s[sgprSizeI]            // coord0 < size0
v_cmp_lt_u32 s[58:59], v1, s[sgprSizeJ]            // coord1 < size1
s_and_b64 s[58:59], s[54:55], s[58:59]             // in0 && in1
_v_add_lshl_u32 v71, v2, v4, 0x1                   // scaleToBpe: accumulate d0 lower and *= bpe into Cin addr
v_cndmask_b32 v71, -1, v71, s[58:59]               // LDC clip if OOB. offset
_v_add_lshl_u32 v70, v3, v4, 0x1                   // scaleToBpe: accumulate d0 lower and *= bpe into Cin addr
v_cndmask_b32 v70, -1, v70, s[58:59]               // LDD clip if OOB. offset
/* (d1,vc1,d0,vc0)=(2,0,2,0) */
s_mov_b32 s54, 128                                 // coordOffset0 d0=2 vc0=0
_v_add_co_u32 v4, vcc, v0, s54                     // coord0.2: coord0 += d0*sg0*VW + vc0
v_cmp_lt_u32 s[54:55], v4, s[sgprSizeI]            // coord0 < size0
v_cmp_lt_u32 s[58:59], v1, s[sgprSizeJ]            // coord1 < size1
s_and_b64 s[58:59], s[54:55], s[58:59]             // in0 && in1
_v_add_lshl_u32 v75, v2, v4, 0x1                   // scaleToBpe: accumulate d0 lower and *= bpe into Cin addr
v_cndmask_b32 v75, -1, v75, s[58:59]               // LDC clip if OOB. offset
_v_add_lshl_u32 v74, v3, v4, 0x1                   // scaleToBpe: accumulate d0 lower and *= bpe into Cin addr
v_cndmask_b32 v74, -1, v74, s[58:59]               // LDD clip if OOB. offset
/* (d1,vc1,d0,vc0)=(2,0,2,1) */
s_mov_b32 s54, 129                                 // coordOffset0 d0=2 vc0=1
_v_add_co_u32 v4, vcc, v0, s54                     // coord0.2: coord0 += d0*sg0*VW + vc0
	;; [unrolled: 10-line block ×8, first 2 shown]
v_cmp_lt_u32 s[54:55], v4, s[sgprSizeI]            // coord0 < size0
v_cmp_lt_u32 s[58:59], v1, s[sgprSizeJ]            // coord1 < size1
s_and_b64 s[58:59], s[54:55], s[58:59]             // in0 && in1
_v_add_lshl_u32 v103, v2, v4, 0x1                  // scaleToBpe: accumulate d0 lower and *= bpe into Cin addr
v_cndmask_b32 v103, -1, v103, s[58:59]             // LDC clip if OOB. offset
_v_add_lshl_u32 v102, v3, v4, 0x1                  // scaleToBpe: accumulate d0 lower and *= bpe into Cin addr
v_cndmask_b32 v102, -1, v102, s[58:59]             // LDD clip if OOB. offset
/* (d1,vc1,d0,vc0)=(2,1,0,0) */
_v_add_co_u32 v1, vcc, v1, 1                       // coord1.1: coord1Vgpr += d1*sg1*VW + vc1

/* Fix for UseInitialStridesCD, emitAddressSetupCode */
_v_add_u32 v2, v2, s[sgprStrideC1J]                // ROWINC- Move cinRowPtr to next row
_v_add_u32 v3, v3, s[sgprStrideD1J]                // Move coutRowPtr to next row
v_cmp_lt_u32 s[54:55], v0, s[sgprSizeI]            // coord0 < size0
v_cmp_lt_u32 s[58:59], v1, s[sgprSizeJ]            // coord1 < size1
s_and_b64 s[58:59], s[54:55], s[58:59]             // in0 && in1
_v_add_lshl_u32 v107, v2, v0, 0x1                  // scaleToBpe: accumulate d0 lower and *= bpe into Cin addr
v_cndmask_b32 v107, -1, v107, s[58:59]             // LDC clip if OOB. offset
_v_add_lshl_u32 v106, v3, v0, 0x1                  // scaleToBpe: accumulate d0 lower and *= bpe into Cin addr
v_cndmask_b32 v106, -1, v106, s[58:59]             // LDD clip if OOB. offset
/* (d1,vc1,d0,vc0)=(2,1,0,1) */
_v_add_co_u32 v4, vcc, v0, 1                       // coord0.1: coord0 += d0*sg0*VW + vc0
v_cmp_lt_u32 s[54:55], v4, s[sgprSizeI]            // coord0 < size0
v_cmp_lt_u32 s[58:59], v1, s[sgprSizeJ]            // coord1 < size1
s_and_b64 s[58:59], s[54:55], s[58:59]             // in0 && in1
_v_add_lshl_u32 v111, v2, v4, 0x1                  // scaleToBpe: accumulate d0 lower and *= bpe into Cin addr
v_cndmask_b32 v111, -1, v111, s[58:59]             // LDC clip if OOB. offset
_v_add_lshl_u32 v110, v3, v4, 0x1                  // scaleToBpe: accumulate d0 lower and *= bpe into Cin addr
v_cndmask_b32 v110, -1, v110, s[58:59]             // LDD clip if OOB. offset
/* (d1,vc1,d0,vc0)=(2,1,0,2) */
_v_add_co_u32 v4, vcc, v0, 2                       // coord0.1: coord0 += d0*sg0*VW + vc0
	;; [unrolled: 9-line block ×3, first 2 shown]
v_cmp_lt_u32 s[54:55], v4, s[sgprSizeI]            // coord0 < size0
v_cmp_lt_u32 s[58:59], v1, s[sgprSizeJ]            // coord1 < size1
s_and_b64 s[58:59], s[54:55], s[58:59]             // in0 && in1
_v_add_lshl_u32 v122, v2, v4, 0x1                  // scaleToBpe: accumulate d0 lower and *= bpe into Cin addr
v_cndmask_b32 v122, -1, v122, s[58:59]             // LDC clip if OOB. offset
_v_add_lshl_u32 v121, v3, v4, 0x1                  // scaleToBpe: accumulate d0 lower and *= bpe into Cin addr
v_cndmask_b32 v121, -1, v121, s[58:59]             // LDD clip if OOB. offset
/* (d1,vc1,d0,vc0)=(2,1,1,0) */
_v_add_co_u32 v4, vcc, v0, 64                      // coord0.1: coord0 += d0*sg0*VW + vc0
v_cmp_lt_u32 s[54:55], v4, s[sgprSizeI]            // coord0 < size0
v_cmp_lt_u32 s[58:59], v1, s[sgprSizeJ]            // coord1 < size1
s_and_b64 s[58:59], s[54:55], s[58:59]             // in0 && in1
_v_add_lshl_u32 v126, v2, v4, 0x1                  // scaleToBpe: accumulate d0 lower and *= bpe into Cin addr
v_cndmask_b32 v126, -1, v126, s[58:59]             // LDC clip if OOB. offset
_v_add_lshl_u32 v125, v3, v4, 0x1                  // scaleToBpe: accumulate d0 lower and *= bpe into Cin addr
v_cndmask_b32 v125, -1, v125, s[58:59]             // LDD clip if OOB. offset
/* (d1,vc1,d0,vc0)=(2,1,1,1) */
s_mov_b32 s54, 65                                  // coordOffset0 d0=1 vc0=1
_v_add_co_u32 v4, vcc, v0, s54                     // coord0.2: coord0 += d0*sg0*VW + vc0
v_cmp_lt_u32 s[54:55], v4, s[sgprSizeI]            // coord0 < size0
v_cmp_lt_u32 s[58:59], v1, s[sgprSizeJ]            // coord1 < size1
s_and_b64 s[58:59], s[54:55], s[58:59]             // in0 && in1
_v_add_lshl_u32 v130, v2, v4, 0x1                  // scaleToBpe: accumulate d0 lower and *= bpe into Cin addr
v_cndmask_b32 v130, -1, v130, s[58:59]             // LDC clip if OOB. offset
_v_add_lshl_u32 v129, v3, v4, 0x1                  // scaleToBpe: accumulate d0 lower and *= bpe into Cin addr
v_cndmask_b32 v129, -1, v129, s[58:59]             // LDD clip if OOB. offset
/* (d1,vc1,d0,vc0)=(2,1,1,2) */
s_mov_b32 s54, 66                                  // coordOffset0 d0=1 vc0=2
_v_add_co_u32 v4, vcc, v0, s54                     // coord0.2: coord0 += d0*sg0*VW + vc0
	;; [unrolled: 10-line block ×3, first 2 shown]
v_cmp_lt_u32 s[54:55], v4, s[sgprSizeI]            // coord0 < size0
v_cmp_lt_u32 s[58:59], v1, s[sgprSizeJ]            // coord1 < size1
s_and_b64 s[58:59], s[54:55], s[58:59]             // in0 && in1
_v_add_lshl_u32 v138, v2, v4, 0x1                  // scaleToBpe: accumulate d0 lower and *= bpe into Cin addr
v_cndmask_b32 v138, -1, v138, s[58:59]             // LDC clip if OOB. offset
_v_add_lshl_u32 v137, v3, v4, 0x1                  // scaleToBpe: accumulate d0 lower and *= bpe into Cin addr
v_cndmask_b32 v137, -1, v137, s[58:59]             // LDD clip if OOB. offset
/* (d1,vc1,d0,vc0)=(2,1,2,0) */
s_mov_b32 s54, 128                                 // coordOffset0 d0=2 vc0=0
_v_add_co_u32 v4, vcc, v0, s54                     // coord0.2: coord0 += d0*sg0*VW + vc0
v_cmp_lt_u32 s[54:55], v4, s[sgprSizeI]            // coord0 < size0
v_cmp_lt_u32 s[58:59], v1, s[sgprSizeJ]            // coord1 < size1
s_and_b64 s[58:59], s[54:55], s[58:59]             // in0 && in1
_v_add_lshl_u32 v142, v2, v4, 0x1                  // scaleToBpe: accumulate d0 lower and *= bpe into Cin addr
v_cndmask_b32 v142, -1, v142, s[58:59]             // LDC clip if OOB. offset
_v_add_lshl_u32 v141, v3, v4, 0x1                  // scaleToBpe: accumulate d0 lower and *= bpe into Cin addr
v_cndmask_b32 v141, -1, v141, s[58:59]             // LDD clip if OOB. offset
/* (d1,vc1,d0,vc0)=(2,1,2,1) */
s_mov_b32 s54, 129                                 // coordOffset0 d0=2 vc0=1
_v_add_co_u32 v4, vcc, v0, s54                     // coord0.2: coord0 += d0*sg0*VW + vc0
	;; [unrolled: 10-line block ×8, first 2 shown]
v_cmp_lt_u32 s[54:55], v4, s[sgprSizeI]            // coord0 < size0
v_cmp_lt_u32 s[58:59], v1, s[sgprSizeJ]            // coord1 < size1
s_and_b64 s[58:59], s[54:55], s[58:59]             // in0 && in1
_v_add_lshl_u32 v170, v2, v4, 0x1                  // scaleToBpe: accumulate d0 lower and *= bpe into Cin addr
v_cndmask_b32 v170, -1, v170, s[58:59]             // LDC clip if OOB. offset
_v_add_lshl_u32 v169, v3, v4, 0x1                  // scaleToBpe: accumulate d0 lower and *= bpe into Cin addr
v_cndmask_b32 v169, -1, v169, s[58:59]             // LDD clip if OOB. offset
/* (d1,vc1,d0,vc0)=(2,2,0,0) */
_v_add_co_u32 v1, vcc, v1, 1                       // coord1.1: coord1Vgpr += d1*sg1*VW + vc1

/* Fix for UseInitialStridesCD, emitAddressSetupCode */
_v_add_u32 v2, v2, s[sgprStrideC1J]                // ROWINC- Move cinRowPtr to next row
_v_add_u32 v3, v3, s[sgprStrideD1J]                // Move coutRowPtr to next row
v_cmp_lt_u32 s[54:55], v0, s[sgprSizeI]            // coord0 < size0
v_cmp_lt_u32 s[58:59], v1, s[sgprSizeJ]            // coord1 < size1
s_and_b64 s[58:59], s[54:55], s[58:59]             // in0 && in1
_v_add_lshl_u32 v174, v2, v0, 0x1                  // scaleToBpe: accumulate d0 lower and *= bpe into Cin addr
v_cndmask_b32 v174, -1, v174, s[58:59]             // LDC clip if OOB. offset
_v_add_lshl_u32 v173, v3, v0, 0x1                  // scaleToBpe: accumulate d0 lower and *= bpe into Cin addr
v_cndmask_b32 v173, -1, v173, s[58:59]             // LDD clip if OOB. offset
/* (d1,vc1,d0,vc0)=(2,2,0,1) */
_v_add_co_u32 v4, vcc, v0, 1                       // coord0.1: coord0 += d0*sg0*VW + vc0
v_cmp_lt_u32 s[54:55], v4, s[sgprSizeI]            // coord0 < size0
v_cmp_lt_u32 s[58:59], v1, s[sgprSizeJ]            // coord1 < size1
s_and_b64 s[58:59], s[54:55], s[58:59]             // in0 && in1
_v_add_lshl_u32 v178, v2, v4, 0x1                  // scaleToBpe: accumulate d0 lower and *= bpe into Cin addr
v_cndmask_b32 v178, -1, v178, s[58:59]             // LDC clip if OOB. offset
_v_add_lshl_u32 v177, v3, v4, 0x1                  // scaleToBpe: accumulate d0 lower and *= bpe into Cin addr
v_cndmask_b32 v177, -1, v177, s[58:59]             // LDD clip if OOB. offset
/* (d1,vc1,d0,vc0)=(2,2,0,2) */
_v_add_co_u32 v4, vcc, v0, 2                       // coord0.1: coord0 += d0*sg0*VW + vc0
	;; [unrolled: 9-line block ×3, first 2 shown]
v_cmp_lt_u32 s[54:55], v4, s[sgprSizeI]            // coord0 < size0
v_cmp_lt_u32 s[58:59], v1, s[sgprSizeJ]            // coord1 < size1
s_and_b64 s[58:59], s[54:55], s[58:59]             // in0 && in1
_v_add_lshl_u32 v186, v2, v4, 0x1                  // scaleToBpe: accumulate d0 lower and *= bpe into Cin addr
v_cndmask_b32 v186, -1, v186, s[58:59]             // LDC clip if OOB. offset
_v_add_lshl_u32 v185, v3, v4, 0x1                  // scaleToBpe: accumulate d0 lower and *= bpe into Cin addr
v_cndmask_b32 v185, -1, v185, s[58:59]             // LDD clip if OOB. offset
/* (d1,vc1,d0,vc0)=(2,2,1,0) */
_v_add_co_u32 v4, vcc, v0, 64                      // coord0.1: coord0 += d0*sg0*VW + vc0
v_cmp_lt_u32 s[54:55], v4, s[sgprSizeI]            // coord0 < size0
v_cmp_lt_u32 s[58:59], v1, s[sgprSizeJ]            // coord1 < size1
s_and_b64 s[58:59], s[54:55], s[58:59]             // in0 && in1
_v_add_lshl_u32 v190, v2, v4, 0x1                  // scaleToBpe: accumulate d0 lower and *= bpe into Cin addr
v_cndmask_b32 v190, -1, v190, s[58:59]             // LDC clip if OOB. offset
_v_add_lshl_u32 v189, v3, v4, 0x1                  // scaleToBpe: accumulate d0 lower and *= bpe into Cin addr
v_cndmask_b32 v189, -1, v189, s[58:59]             // LDD clip if OOB. offset
/* (d1,vc1,d0,vc0)=(2,2,1,1) */
s_mov_b32 s54, 65                                  // coordOffset0 d0=1 vc0=1
_v_add_co_u32 v4, vcc, v0, s54                     // coord0.2: coord0 += d0*sg0*VW + vc0
v_cmp_lt_u32 s[54:55], v4, s[sgprSizeI]            // coord0 < size0
v_cmp_lt_u32 s[58:59], v1, s[sgprSizeJ]            // coord1 < size1
s_and_b64 s[58:59], s[54:55], s[58:59]             // in0 && in1
_v_add_lshl_u32 v194, v2, v4, 0x1                  // scaleToBpe: accumulate d0 lower and *= bpe into Cin addr
v_cndmask_b32 v194, -1, v194, s[58:59]             // LDC clip if OOB. offset
_v_add_lshl_u32 v193, v3, v4, 0x1                  // scaleToBpe: accumulate d0 lower and *= bpe into Cin addr
v_cndmask_b32 v193, -1, v193, s[58:59]             // LDD clip if OOB. offset
/* (d1,vc1,d0,vc0)=(2,2,1,2) */
s_mov_b32 s54, 66                                  // coordOffset0 d0=1 vc0=2
_v_add_co_u32 v4, vcc, v0, s54                     // coord0.2: coord0 += d0*sg0*VW + vc0
	;; [unrolled: 10-line block ×3, first 2 shown]
v_cmp_lt_u32 s[54:55], v4, s[sgprSizeI]            // coord0 < size0
v_cmp_lt_u32 s[58:59], v1, s[sgprSizeJ]            // coord1 < size1
s_and_b64 s[58:59], s[54:55], s[58:59]             // in0 && in1
_v_add_lshl_u32 v202, v2, v4, 0x1                  // scaleToBpe: accumulate d0 lower and *= bpe into Cin addr
v_cndmask_b32 v202, -1, v202, s[58:59]             // LDC clip if OOB. offset
_v_add_lshl_u32 v201, v3, v4, 0x1                  // scaleToBpe: accumulate d0 lower and *= bpe into Cin addr
v_cndmask_b32 v201, -1, v201, s[58:59]             // LDD clip if OOB. offset
/* (d1,vc1,d0,vc0)=(2,2,2,0) */
s_mov_b32 s54, 128                                 // coordOffset0 d0=2 vc0=0
_v_add_co_u32 v4, vcc, v0, s54                     // coord0.2: coord0 += d0*sg0*VW + vc0
v_cmp_lt_u32 s[54:55], v4, s[sgprSizeI]            // coord0 < size0
v_cmp_lt_u32 s[58:59], v1, s[sgprSizeJ]            // coord1 < size1
s_and_b64 s[58:59], s[54:55], s[58:59]             // in0 && in1
_v_add_lshl_u32 v206, v2, v4, 0x1                  // scaleToBpe: accumulate d0 lower and *= bpe into Cin addr
v_cndmask_b32 v206, -1, v206, s[58:59]             // LDC clip if OOB. offset
_v_add_lshl_u32 v205, v3, v4, 0x1                  // scaleToBpe: accumulate d0 lower and *= bpe into Cin addr
v_cndmask_b32 v205, -1, v205, s[58:59]             // LDD clip if OOB. offset
/* (d1,vc1,d0,vc0)=(2,2,2,1) */
s_mov_b32 s54, 129                                 // coordOffset0 d0=2 vc0=1
_v_add_co_u32 v4, vcc, v0, s54                     // coord0.2: coord0 += d0*sg0*VW + vc0
	;; [unrolled: 10-line block ×8, first 2 shown]
v_cmp_lt_u32 s[54:55], v4, s[sgprSizeI]            // coord0 < size0
v_cmp_lt_u32 s[58:59], v1, s[sgprSizeJ]            // coord1 < size1
s_and_b64 s[58:59], s[54:55], s[58:59]             // in0 && in1
_v_add_lshl_u32 v234, v2, v4, 0x1                  // scaleToBpe: accumulate d0 lower and *= bpe into Cin addr
v_cndmask_b32 v234, -1, v234, s[58:59]             // LDC clip if OOB. offset
_v_add_lshl_u32 v233, v3, v4, 0x1                  // scaleToBpe: accumulate d0 lower and *= bpe into Cin addr
v_cndmask_b32 v233, -1, v233, s[58:59]             // LDD clip if OOB. offset
/* (d1,vc1,d0,vc0)=(2,3,0,0) */
_v_add_co_u32 v1, vcc, v1, 1                       // coord1.1: coord1Vgpr += d1*sg1*VW + vc1

/* Fix for UseInitialStridesCD, emitAddressSetupCode */
_v_add_u32 v2, v2, s[sgprStrideC1J]                // ROWINC- Move cinRowPtr to next row
_v_add_u32 v3, v3, s[sgprStrideD1J]                // Move coutRowPtr to next row
v_cmp_lt_u32 s[54:55], v0, s[sgprSizeI]            // coord0 < size0
v_cmp_lt_u32 s[58:59], v1, s[sgprSizeJ]            // coord1 < size1
s_and_b64 s[58:59], s[54:55], s[58:59]             // in0 && in1
_v_add_lshl_u32 v238, v2, v0, 0x1                  // scaleToBpe: accumulate d0 lower and *= bpe into Cin addr
v_cndmask_b32 v238, -1, v238, s[58:59]             // LDC clip if OOB. offset
_v_add_lshl_u32 v237, v3, v0, 0x1                  // scaleToBpe: accumulate d0 lower and *= bpe into Cin addr
v_cndmask_b32 v237, -1, v237, s[58:59]             // LDD clip if OOB. offset
/* (d1,vc1,d0,vc0)=(2,3,0,1) */
_v_add_co_u32 v4, vcc, v0, 1                       // coord0.1: coord0 += d0*sg0*VW + vc0
v_cmp_lt_u32 s[54:55], v4, s[sgprSizeI]            // coord0 < size0
v_cmp_lt_u32 s[58:59], v1, s[sgprSizeJ]            // coord1 < size1
s_and_b64 s[58:59], s[54:55], s[58:59]             // in0 && in1
_v_add_lshl_u32 v242, v2, v4, 0x1                  // scaleToBpe: accumulate d0 lower and *= bpe into Cin addr
v_cndmask_b32 v242, -1, v242, s[58:59]             // LDC clip if OOB. offset
_v_add_lshl_u32 v241, v3, v4, 0x1                  // scaleToBpe: accumulate d0 lower and *= bpe into Cin addr
v_cndmask_b32 v241, -1, v241, s[58:59]             // LDD clip if OOB. offset
/* (d1,vc1,d0,vc0)=(2,3,0,2) */
_v_add_co_u32 v4, vcc, v0, 2                       // coord0.1: coord0 += d0*sg0*VW + vc0
	;; [unrolled: 9-line block ×3, first 2 shown]
v_cmp_lt_u32 s[54:55], v4, s[sgprSizeI]            // coord0 < size0
v_cmp_lt_u32 s[58:59], v1, s[sgprSizeJ]            // coord1 < size1
s_and_b64 s[58:59], s[54:55], s[58:59]             // in0 && in1
_v_add_lshl_u32 v250, v2, v4, 0x1                  // scaleToBpe: accumulate d0 lower and *= bpe into Cin addr
v_cndmask_b32 v250, -1, v250, s[58:59]             // LDC clip if OOB. offset
_v_add_lshl_u32 v249, v3, v4, 0x1                  // scaleToBpe: accumulate d0 lower and *= bpe into Cin addr
v_cndmask_b32 v249, -1, v249, s[58:59]             // LDD clip if OOB. offset
_buffer_load_d16_b16 v12, v11, s[sgprSrdC:sgprSrdC+3], 0, offen offset:0,  sc0 sc1 // load C for beta calc
_buffer_load_d16_b16 v16, v15, s[sgprSrdC:sgprSrdC+3], 0, offen offset:0,  sc0 sc1 // load C for beta calc
	;; [unrolled: 1-line block ×60, first 2 shown]
s_sleep 5 // optimization: sync and wait
s_barrier
v_accvgpr_read_b32 v[vgprValuC+13], acc99 // copy acc to vreg[120]
v_accvgpr_read_b32 v[vgprValuC+17], acc103 // copy acc to vreg[121]
v_accvgpr_read_b32 v[vgprValuC+21], acc107 // copy acc to vreg[122]
v_accvgpr_read_b32 v[vgprValuC+25], acc111 // copy acc to vreg[123]
v_accvgpr_read_b32 v[vgprValuC+29], acc115 // copy acc to vreg[124]
v_accvgpr_read_b32 v[vgprValuC+33], acc119 // copy acc to vreg[125]
v_accvgpr_read_b32 v[vgprValuC+37], acc123 // copy acc to vreg[126]
v_accvgpr_read_b32 v[vgprValuC+41], acc127 // copy acc to vreg[127]
v_accvgpr_read_b32 v[vgprValuC+45], acc128 // copy acc to vreg[128]
v_accvgpr_read_b32 v[vgprValuC+49], acc132 // copy acc to vreg[129]
v_accvgpr_read_b32 v[vgprValuC+53], acc136 // copy acc to vreg[130]
v_accvgpr_read_b32 v[vgprValuC+57], acc140 // copy acc to vreg[131]
v_accvgpr_read_b32 v[vgprValuC+61], acc144 // copy acc to vreg[132]
v_accvgpr_read_b32 v[vgprValuC+65], acc148 // copy acc to vreg[133]
v_accvgpr_read_b32 v[vgprValuC+69], acc152 // copy acc to vreg[134]
v_accvgpr_read_b32 v[vgprValuC+73], acc156 // copy acc to vreg[135]
v_accvgpr_read_b32 v[vgprValuC+77], acc160 // copy acc to vreg[136]
v_accvgpr_read_b32 v[vgprValuC+81], acc164 // copy acc to vreg[137]
v_accvgpr_read_b32 v[vgprValuC+85], acc168 // copy acc to vreg[138]
v_accvgpr_read_b32 v[vgprValuC+89], acc172 // copy acc to vreg[139]
v_accvgpr_read_b32 v[vgprValuC+93], acc176 // copy acc to vreg[140]
v_accvgpr_read_b32 v[vgprValuC+97], acc180 // copy acc to vreg[141]
v_accvgpr_read_b32 v[vgprValuC+101], acc184 // copy acc to vreg[142]
v_accvgpr_read_b32 v[vgprValuC+105], acc188 // copy acc to vreg[143]
v_accvgpr_read_b32 v[vgprValuC+109], acc129 // copy acc to vreg[144]
v_accvgpr_read_b32 v[vgprValuC+113], acc133 // copy acc to vreg[145]
v_accvgpr_read_b32 v[vgprValuC+120], acc137 // copy acc to vreg[146]
v_accvgpr_read_b32 v[vgprValuC+124], acc141 // copy acc to vreg[147]
v_accvgpr_read_b32 v[vgprValuC+128], acc145 // copy acc to vreg[148]
v_accvgpr_read_b32 v[vgprValuC+132], acc149 // copy acc to vreg[149]
v_accvgpr_read_b32 v[vgprValuC+136], acc153 // copy acc to vreg[150]
v_accvgpr_read_b32 v[vgprValuC+140], acc157 // copy acc to vreg[151]
v_accvgpr_read_b32 v[vgprValuC+144], acc161 // copy acc to vreg[152]
v_accvgpr_read_b32 v[vgprValuC+148], acc165 // copy acc to vreg[153]
v_accvgpr_read_b32 v[vgprValuC+152], acc169 // copy acc to vreg[154]
v_accvgpr_read_b32 v[vgprValuC+156], acc173 // copy acc to vreg[155]
v_accvgpr_read_b32 v[vgprValuC+160], acc177 // copy acc to vreg[156]
v_accvgpr_read_b32 v[vgprValuC+164], acc181 // copy acc to vreg[157]
v_accvgpr_read_b32 v[vgprValuC+168], acc185 // copy acc to vreg[158]
v_accvgpr_read_b32 v[vgprValuC+172], acc189 // copy acc to vreg[159]
v_accvgpr_read_b32 v[vgprValuC+176], acc130 // copy acc to vreg[160]
v_accvgpr_read_b32 v[vgprValuC+180], acc134 // copy acc to vreg[161]
v_accvgpr_read_b32 v[vgprValuC+184], acc138 // copy acc to vreg[162]
v_accvgpr_read_b32 v[vgprValuC+188], acc142 // copy acc to vreg[163]
v_accvgpr_read_b32 v[vgprValuC+192], acc146 // copy acc to vreg[164]
v_accvgpr_read_b32 v[vgprValuC+196], acc150 // copy acc to vreg[165]
v_accvgpr_read_b32 v[vgprValuC+200], acc154 // copy acc to vreg[166]
v_accvgpr_read_b32 v[vgprValuC+204], acc158 // copy acc to vreg[167]
v_accvgpr_read_b32 v[vgprValuC+208], acc162 // copy acc to vreg[168]
v_accvgpr_read_b32 v[vgprValuC+212], acc166 // copy acc to vreg[169]
v_accvgpr_read_b32 v[vgprValuC+216], acc170 // copy acc to vreg[170]
v_accvgpr_read_b32 v[vgprValuC+220], acc174 // copy acc to vreg[171]
v_accvgpr_read_b32 v[vgprValuC+224], acc178 // copy acc to vreg[172]
v_accvgpr_read_b32 v[vgprValuC+228], acc182 // copy acc to vreg[173]
v_accvgpr_read_b32 v[vgprValuC+232], acc186 // copy acc to vreg[174]
v_accvgpr_read_b32 v[vgprValuC+236], acc190 // copy acc to vreg[175]
v_accvgpr_read_b32 v[vgprValuC+240], acc131 // copy acc to vreg[176]
v_accvgpr_read_b32 v[vgprValuC+244], acc135 // copy acc to vreg[177]
v_accvgpr_read_b32 v[vgprValuC+248], acc139 // copy acc to vreg[178]
v_accvgpr_read_b32 v[vgprValuC+252], acc143 // copy acc to vreg[179]
s_nop 1                                            // 2 wait states required before reading vgpr

/* rC *= alpha batchElements=[(1, 2, 3, 0), (1, 2, 3, 1), (1, 2, 3, 2), (1, 2, 3, 3), (1, 3, 3, 0), (1, 3, 3, 1), (1, 3, 3, 2), (1, 3, 3, 3), (2, 0, 0, 0), (2, 0, 0, 1), (2, 0, 0, 2), (2, 0, 0, 3), (2, 1, 0, 0), (2, 1, 0, 1), (2, 1, 0, 2), (2, 1, 0, 3), (2, 2, 0, 0), (2, 2, 0, 1), (2, 2, 0, 2), (2, 2, 0, 3), (2, 3, 0, 0), (2, 3, 0, 1), (2, 3, 0, 2), (2, 3, 0, 3), (2, 0, 1, 0), (2, 0, 1, 1), (2, 0, 1, 2), (2, 0, 1, 3), (2, 1, 1, 0), (2, 1, 1, 1), (2, 1, 1, 2), (2, 1, 1, 3), (2, 2, 1, 0), (2, 2, 1, 1), (2, 2, 1, 2), (2, 2, 1, 3), (2, 3, 1, 0), (2, 3, 1, 1), (2, 3, 1, 2), (2, 3, 1, 3), (2, 0, 2, 0), (2, 0, 2, 1), (2, 0, 2, 2), (2, 0, 2, 3), (2, 1, 2, 0), (2, 1, 2, 1), (2, 1, 2, 2), (2, 1, 2, 3), (2, 2, 2, 0), (2, 2, 2, 1), (2, 2, 2, 2), (2, 2, 2, 3), (2, 3, 2, 0), (2, 3, 2, 1), (2, 3, 2, 2), (2, 3, 2, 3), (2, 0, 3, 0), (2, 0, 3, 1), (2, 0, 3, 2), (2, 0, 3, 3)] */
v_mul_f32 v[vgprValuC+13], s[sgprAlpha], v[vgprValuC+13] // *= alpha
v_mul_f32 v[vgprValuC+17], s[sgprAlpha], v[vgprValuC+17] // *= alpha
	;; [unrolled: 1-line block ×60, first 2 shown]
s_waitcnt vmcnt(0)                                 // wait C

/* apply mask, calc new C and issue writes */
v_mov_b32 v7, 0xffff0000                           // mask for pack two bfloat16 element to 32bit
v_mov_b32 v8, 0x7fff0000                           // fp32 Nan
v_mov_b32 v9, 0x7fff                               // rounding bias for bfloat16
v_lshlrev_b32 v4, 16, v12                          // convert bf16 to fp32
_v_mac_f32 v[vgprValuC+13], v4, s[sgprBeta]        // finalSum = sum*alpha + C*beta
v_cmp_u_f32 s[54:55], v[vgprValuC+13], v[vgprValuC+13] // check Nan
v_bfe_u32 v6, v[vgprValuC+13], 16, 1               // Non-Nan case: store lsb of bf16
v_add3_u32 v6, v[vgprValuC+13], v6, v9             // Non-Nan case: add lsb and the increment for rounding
v_cndmask_b32 v[vgprValuC+13], v6, v8, s[54:55]    // 
v_lshrrev_b32 v[vgprValuC+13], 16, v[vgprValuC+13] // convert C to bf16
v_lshlrev_b32 v4, 16, v16                          // convert bf16 to fp32
_v_mac_f32 v[vgprValuC+17], v4, s[sgprBeta]        // finalSum = sum*alpha + C*beta
v_cmp_u_f32 s[54:55], v[vgprValuC+17], v[vgprValuC+17] // check Nan
v_bfe_u32 v6, v[vgprValuC+17], 16, 1               // Non-Nan case: store lsb of bf16
v_add3_u32 v6, v[vgprValuC+17], v6, v9             // Non-Nan case: add lsb and the increment for rounding
v_cndmask_b32 v[vgprValuC+17], v6, v8, s[54:55]    // 
v_lshrrev_b32 v[vgprValuC+17], 16, v[vgprValuC+17] // convert C to bf16
	;; [unrolled: 7-line block ×22, first 2 shown]
v_lshlrev_b32 v4, 16, v100                         // convert bf16 to fp32
_v_mac_f32 v[vgprValuC+101], v4, s[sgprBeta]       // finalSum = sum*alpha + C*beta
v_cmp_u_f32 s[54:55], v[vgprValuC+101], v[vgprValuC+101] // check Nan
v_bfe_u32 v6, v[vgprValuC+101], 16, 1              // Non-Nan case: store lsb of bf16
v_add3_u32 v6, v[vgprValuC+101], v6, v9            // Non-Nan case: add lsb and the increment for rounding
v_cndmask_b32 v[vgprValuC+101], v6, v8, s[54:55]   // 
v_lshrrev_b32 v[vgprValuC+101], 16, v[vgprValuC+101] // convert C to bf16
v_lshlrev_b32 v4, 16, v104                         // convert bf16 to fp32
_v_mac_f32 v[vgprValuC+105], v4, s[sgprBeta]       // finalSum = sum*alpha + C*beta
v_cmp_u_f32 s[54:55], v[vgprValuC+105], v[vgprValuC+105] // check Nan
v_bfe_u32 v6, v[vgprValuC+105], 16, 1              // Non-Nan case: store lsb of bf16
v_add3_u32 v6, v[vgprValuC+105], v6, v9            // Non-Nan case: add lsb and the increment for rounding
v_cndmask_b32 v[vgprValuC+105], v6, v8, s[54:55]   // 
v_lshrrev_b32 v[vgprValuC+105], 16, v[vgprValuC+105] // convert C to bf16
	;; [unrolled: 7-line block ×38, first 2 shown]
_buffer_store_b16 v13, v10, s[sgprSrdD:sgprSrdD+3], 0, offen, offset:0,  sc0 sc1 // store D
_buffer_store_b16 v17, v14, s[sgprSrdD:sgprSrdD+3], 0, offen, offset:0,  sc0 sc1 // store D
_buffer_store_b16 v21, v18, s[sgprSrdD:sgprSrdD+3], 0, offen, offset:0,  sc0 sc1 // store D
_buffer_store_b16 v25, v22, s[sgprSrdD:sgprSrdD+3], 0, offen, offset:0,  sc0 sc1 // store D
_buffer_store_b16 v29, v26, s[sgprSrdD:sgprSrdD+3], 0, offen, offset:0,  sc0 sc1 // store D
_buffer_store_b16 v33, v30, s[sgprSrdD:sgprSrdD+3], 0, offen, offset:0,  sc0 sc1 // store D
_buffer_store_b16 v37, v34, s[sgprSrdD:sgprSrdD+3], 0, offen, offset:0,  sc0 sc1 // store D
_buffer_store_b16 v41, v38, s[sgprSrdD:sgprSrdD+3], 0, offen, offset:0,  sc0 sc1 // store D
_buffer_store_b16 v45, v42, s[sgprSrdD:sgprSrdD+3], 0, offen, offset:0,  sc0 sc1 // store D
_buffer_store_b16 v49, v46, s[sgprSrdD:sgprSrdD+3], 0, offen, offset:0,  sc0 sc1 // store D
_buffer_store_b16 v53, v50, s[sgprSrdD:sgprSrdD+3], 0, offen, offset:0,  sc0 sc1 // store D
_buffer_store_b16 v57, v54, s[sgprSrdD:sgprSrdD+3], 0, offen, offset:0,  sc0 sc1 // store D
_buffer_store_b16 v61, v58, s[sgprSrdD:sgprSrdD+3], 0, offen, offset:0,  sc0 sc1 // store D
_buffer_store_b16 v65, v62, s[sgprSrdD:sgprSrdD+3], 0, offen, offset:0,  sc0 sc1 // store D
_buffer_store_b16 v69, v66, s[sgprSrdD:sgprSrdD+3], 0, offen, offset:0,  sc0 sc1 // store D
_buffer_store_b16 v73, v70, s[sgprSrdD:sgprSrdD+3], 0, offen, offset:0,  sc0 sc1 // store D
_buffer_store_b16 v77, v74, s[sgprSrdD:sgprSrdD+3], 0, offen, offset:0,  sc0 sc1 // store D
_buffer_store_b16 v81, v78, s[sgprSrdD:sgprSrdD+3], 0, offen, offset:0,  sc0 sc1 // store D
_buffer_store_b16 v85, v82, s[sgprSrdD:sgprSrdD+3], 0, offen, offset:0,  sc0 sc1 // store D
_buffer_store_b16 v89, v86, s[sgprSrdD:sgprSrdD+3], 0, offen, offset:0,  sc0 sc1 // store D
_buffer_store_b16 v93, v90, s[sgprSrdD:sgprSrdD+3], 0, offen, offset:0,  sc0 sc1 // store D
_buffer_store_b16 v97, v94, s[sgprSrdD:sgprSrdD+3], 0, offen, offset:0,  sc0 sc1 // store D
_buffer_store_b16 v101, v98, s[sgprSrdD:sgprSrdD+3], 0, offen, offset:0,  sc0 sc1 // store D
_buffer_store_b16 v105, v102, s[sgprSrdD:sgprSrdD+3], 0, offen, offset:0,  sc0 sc1 // store D
_buffer_store_b16 v109, v106, s[sgprSrdD:sgprSrdD+3], 0, offen, offset:0,  sc0 sc1 // store D
_buffer_store_b16 v113, v110, s[sgprSrdD:sgprSrdD+3], 0, offen, offset:0,  sc0 sc1 // store D
_buffer_store_b16 v120, v114, s[sgprSrdD:sgprSrdD+3], 0, offen, offset:0,  sc0 sc1 // store D
_buffer_store_b16 v124, v121, s[sgprSrdD:sgprSrdD+3], 0, offen, offset:0,  sc0 sc1 // store D
_buffer_store_b16 v128, v125, s[sgprSrdD:sgprSrdD+3], 0, offen, offset:0,  sc0 sc1 // store D
_buffer_store_b16 v132, v129, s[sgprSrdD:sgprSrdD+3], 0, offen, offset:0,  sc0 sc1 // store D
_buffer_store_b16 v136, v133, s[sgprSrdD:sgprSrdD+3], 0, offen, offset:0,  sc0 sc1 // store D
_buffer_store_b16 v140, v137, s[sgprSrdD:sgprSrdD+3], 0, offen, offset:0,  sc0 sc1 // store D
_buffer_store_b16 v144, v141, s[sgprSrdD:sgprSrdD+3], 0, offen, offset:0,  sc0 sc1 // store D
_buffer_store_b16 v148, v145, s[sgprSrdD:sgprSrdD+3], 0, offen, offset:0,  sc0 sc1 // store D
_buffer_store_b16 v152, v149, s[sgprSrdD:sgprSrdD+3], 0, offen, offset:0,  sc0 sc1 // store D
_buffer_store_b16 v156, v153, s[sgprSrdD:sgprSrdD+3], 0, offen, offset:0,  sc0 sc1 // store D
_buffer_store_b16 v160, v157, s[sgprSrdD:sgprSrdD+3], 0, offen, offset:0,  sc0 sc1 // store D
_buffer_store_b16 v164, v161, s[sgprSrdD:sgprSrdD+3], 0, offen, offset:0,  sc0 sc1 // store D
_buffer_store_b16 v168, v165, s[sgprSrdD:sgprSrdD+3], 0, offen, offset:0,  sc0 sc1 // store D
_buffer_store_b16 v172, v169, s[sgprSrdD:sgprSrdD+3], 0, offen, offset:0,  sc0 sc1 // store D
_buffer_store_b16 v176, v173, s[sgprSrdD:sgprSrdD+3], 0, offen, offset:0,  sc0 sc1 // store D
_buffer_store_b16 v180, v177, s[sgprSrdD:sgprSrdD+3], 0, offen, offset:0,  sc0 sc1 // store D
_buffer_store_b16 v184, v181, s[sgprSrdD:sgprSrdD+3], 0, offen, offset:0,  sc0 sc1 // store D
_buffer_store_b16 v188, v185, s[sgprSrdD:sgprSrdD+3], 0, offen, offset:0,  sc0 sc1 // store D
_buffer_store_b16 v192, v189, s[sgprSrdD:sgprSrdD+3], 0, offen, offset:0,  sc0 sc1 // store D
_buffer_store_b16 v196, v193, s[sgprSrdD:sgprSrdD+3], 0, offen, offset:0,  sc0 sc1 // store D
_buffer_store_b16 v200, v197, s[sgprSrdD:sgprSrdD+3], 0, offen, offset:0,  sc0 sc1 // store D
_buffer_store_b16 v204, v201, s[sgprSrdD:sgprSrdD+3], 0, offen, offset:0,  sc0 sc1 // store D
_buffer_store_b16 v208, v205, s[sgprSrdD:sgprSrdD+3], 0, offen, offset:0,  sc0 sc1 // store D
_buffer_store_b16 v212, v209, s[sgprSrdD:sgprSrdD+3], 0, offen, offset:0,  sc0 sc1 // store D
_buffer_store_b16 v216, v213, s[sgprSrdD:sgprSrdD+3], 0, offen, offset:0,  sc0 sc1 // store D
_buffer_store_b16 v220, v217, s[sgprSrdD:sgprSrdD+3], 0, offen, offset:0,  sc0 sc1 // store D
_buffer_store_b16 v224, v221, s[sgprSrdD:sgprSrdD+3], 0, offen, offset:0,  sc0 sc1 // store D
_buffer_store_b16 v228, v225, s[sgprSrdD:sgprSrdD+3], 0, offen, offset:0,  sc0 sc1 // store D
_buffer_store_b16 v232, v229, s[sgprSrdD:sgprSrdD+3], 0, offen, offset:0,  sc0 sc1 // store D
_buffer_store_b16 v236, v233, s[sgprSrdD:sgprSrdD+3], 0, offen, offset:0,  sc0 sc1 // store D
_buffer_store_b16 v240, v237, s[sgprSrdD:sgprSrdD+3], 0, offen, offset:0,  sc0 sc1 // store D
_buffer_store_b16 v244, v241, s[sgprSrdD:sgprSrdD+3], 0, offen, offset:0,  sc0 sc1 // store D
_buffer_store_b16 v248, v245, s[sgprSrdD:sgprSrdD+3], 0, offen, offset:0,  sc0 sc1 // store D
_buffer_store_b16 v252, v249, s[sgprSrdD:sgprSrdD+3], 0, offen, offset:0,  sc0 sc1 // store D
s_nop 0                                            // 1 wait state required when next inst writes vgprs held by previous dwordx4 store inst
/* optSingleColVgpr=0 optSharedColVgpr=0 optSGPRUsage=BufferLoad_Edge_Mask optSrdIncForRow=0 */
s_sleep 5 // optimization: sync and wait
s_barrier

/******************************************/
/* Global Write Alpha Beta Edge Batch #3 (d1,d0,vc1,vc0) = */
/*    (2,1,3,0:vw1); (2,1,3,1:vw1); (2,1,3,2:vw1); (2,1,3,3:vw1); (2,2,3,0:vw1); (2,2,3,1:vw1); (2,2,3,2:vw1); (2,2,3,3:vw1); (2,3,3,0:vw1); (2,3,3,1:vw1); (2,3,3,2:vw1); (2,3,3,3:vw1); (3,0,0,0:vw1); (3,0,0,1:vw1); (3,0,0,2:vw1); (3,0,0,3:vw1); (3,1,0,0:vw1); (3,1,0,1:vw1); (3,1,0,2:vw1); (3,1,0,3:vw1); (3,2,0,0:vw1); (3,2,0,1:vw1); (3,2,0,2:vw1); (3,2,0,3:vw1); (3,3,0,0:vw1); (3,3,0,1:vw1); (3,3,0,2:vw1); (3,3,0,3:vw1); (3,0,1,0:vw1); (3,0,1,1:vw1); (3,0,1,2:vw1); (3,0,1,3:vw1); (3,1,1,0:vw1); (3,1,1,1:vw1); (3,1,1,2:vw1); (3,1,1,3:vw1); (3,2,1,0:vw1); (3,2,1,1:vw1); (3,2,1,2:vw1); (3,2,1,3:vw1); (3,3,1,0:vw1); (3,3,1,1:vw1); (3,3,1,2:vw1); (3,3,1,3:vw1); (3,0,2,0:vw1); (3,0,2,1:vw1); (3,0,2,2:vw1); (3,0,2,3:vw1); (3,1,2,0:vw1); (3,1,2,1:vw1); (3,1,2,2:vw1); (3,1,2,3:vw1); (3,2,2,0:vw1); (3,2,2,1:vw1); (3,2,2,2:vw1); (3,2,2,3:vw1); (3,3,2,0:vw1); (3,3,2,1:vw1); (3,3,2,2:vw1); (3,3,2,3:vw1) */
/******************************************/

/* calc coords, apply mask, and issue loads (if necessary) */
/* (d1,vc1,d0,vc0)=(2,3,1,0) */
_v_add_co_u32 v4, vcc, v0, 64                      // coord0.1: coord0 += d0*sg0*VW + vc0
v_cmp_lt_u32 s[54:55], v4, s[sgprSizeI]            // coord0 < size0
v_cmp_lt_u32 s[58:59], v1, s[sgprSizeJ]            // coord1 < size1
s_and_b64 s[58:59], s[54:55], s[58:59]             // in0 && in1
_v_add_lshl_u32 v11, v2, v4, 0x1                   // scaleToBpe: accumulate d0 lower and *= bpe into Cin addr
v_cndmask_b32 v11, -1, v11, s[58:59]               // LDC clip if OOB. offset
_v_add_lshl_u32 v10, v3, v4, 0x1                   // scaleToBpe: accumulate d0 lower and *= bpe into Cin addr
v_cndmask_b32 v10, -1, v10, s[58:59]               // LDD clip if OOB. offset
/* (d1,vc1,d0,vc0)=(2,3,1,1) */
s_mov_b32 s54, 65                                  // coordOffset0 d0=1 vc0=1
_v_add_co_u32 v4, vcc, v0, s54                     // coord0.2: coord0 += d0*sg0*VW + vc0
v_cmp_lt_u32 s[54:55], v4, s[sgprSizeI]            // coord0 < size0
v_cmp_lt_u32 s[58:59], v1, s[sgprSizeJ]            // coord1 < size1
s_and_b64 s[58:59], s[54:55], s[58:59]             // in0 && in1
_v_add_lshl_u32 v15, v2, v4, 0x1                   // scaleToBpe: accumulate d0 lower and *= bpe into Cin addr
v_cndmask_b32 v15, -1, v15, s[58:59]               // LDC clip if OOB. offset
_v_add_lshl_u32 v14, v3, v4, 0x1                   // scaleToBpe: accumulate d0 lower and *= bpe into Cin addr
v_cndmask_b32 v14, -1, v14, s[58:59]               // LDD clip if OOB. offset
/* (d1,vc1,d0,vc0)=(2,3,1,2) */
s_mov_b32 s54, 66                                  // coordOffset0 d0=1 vc0=2
_v_add_co_u32 v4, vcc, v0, s54                     // coord0.2: coord0 += d0*sg0*VW + vc0
v_cmp_lt_u32 s[54:55], v4, s[sgprSizeI]            // coord0 < size0
v_cmp_lt_u32 s[58:59], v1, s[sgprSizeJ]            // coord1 < size1
s_and_b64 s[58:59], s[54:55], s[58:59]             // in0 && in1
_v_add_lshl_u32 v19, v2, v4, 0x1                   // scaleToBpe: accumulate d0 lower and *= bpe into Cin addr
v_cndmask_b32 v19, -1, v19, s[58:59]               // LDC clip if OOB. offset
_v_add_lshl_u32 v18, v3, v4, 0x1                   // scaleToBpe: accumulate d0 lower and *= bpe into Cin addr
v_cndmask_b32 v18, -1, v18, s[58:59]               // LDD clip if OOB. offset
/* (d1,vc1,d0,vc0)=(2,3,1,3) */
s_mov_b32 s54, 67                                  // coordOffset0 d0=1 vc0=3
_v_add_co_u32 v4, vcc, v0, s54                     // coord0.2: coord0 += d0*sg0*VW + vc0
v_cmp_lt_u32 s[54:55], v4, s[sgprSizeI]            // coord0 < size0
v_cmp_lt_u32 s[58:59], v1, s[sgprSizeJ]            // coord1 < size1
s_and_b64 s[58:59], s[54:55], s[58:59]             // in0 && in1
_v_add_lshl_u32 v23, v2, v4, 0x1                   // scaleToBpe: accumulate d0 lower and *= bpe into Cin addr
v_cndmask_b32 v23, -1, v23, s[58:59]               // LDC clip if OOB. offset
_v_add_lshl_u32 v22, v3, v4, 0x1                   // scaleToBpe: accumulate d0 lower and *= bpe into Cin addr
v_cndmask_b32 v22, -1, v22, s[58:59]               // LDD clip if OOB. offset
/* (d1,vc1,d0,vc0)=(2,3,2,0) */
s_mov_b32 s54, 128                                 // coordOffset0 d0=2 vc0=0
_v_add_co_u32 v4, vcc, v0, s54                     // coord0.2: coord0 += d0*sg0*VW + vc0
v_cmp_lt_u32 s[54:55], v4, s[sgprSizeI]            // coord0 < size0
v_cmp_lt_u32 s[58:59], v1, s[sgprSizeJ]            // coord1 < size1
s_and_b64 s[58:59], s[54:55], s[58:59]             // in0 && in1
_v_add_lshl_u32 v27, v2, v4, 0x1                   // scaleToBpe: accumulate d0 lower and *= bpe into Cin addr
v_cndmask_b32 v27, -1, v27, s[58:59]               // LDC clip if OOB. offset
_v_add_lshl_u32 v26, v3, v4, 0x1                   // scaleToBpe: accumulate d0 lower and *= bpe into Cin addr
v_cndmask_b32 v26, -1, v26, s[58:59]               // LDD clip if OOB. offset
/* (d1,vc1,d0,vc0)=(2,3,2,1) */
s_mov_b32 s54, 129                                 // coordOffset0 d0=2 vc0=1
_v_add_co_u32 v4, vcc, v0, s54                     // coord0.2: coord0 += d0*sg0*VW + vc0
	;; [unrolled: 10-line block ×8, first 2 shown]
v_cmp_lt_u32 s[54:55], v4, s[sgprSizeI]            // coord0 < size0
v_cmp_lt_u32 s[58:59], v1, s[sgprSizeJ]            // coord1 < size1
s_and_b64 s[58:59], s[54:55], s[58:59]             // in0 && in1
_v_add_lshl_u32 v55, v2, v4, 0x1                   // scaleToBpe: accumulate d0 lower and *= bpe into Cin addr
v_cndmask_b32 v55, -1, v55, s[58:59]               // LDC clip if OOB. offset
_v_add_lshl_u32 v54, v3, v4, 0x1                   // scaleToBpe: accumulate d0 lower and *= bpe into Cin addr
v_cndmask_b32 v54, -1, v54, s[58:59]               // LDD clip if OOB. offset
/* (d1,vc1,d0,vc0)=(3,0,0,0) */
_v_add_co_u32 v1, vcc, v1, 61                      // coord1.1: coord1Vgpr += d1*sg1*VW + vc1

/* Fix for UseInitialStridesCD, emitAddressSetupCode */
s_mul_i32 s54, s[sgprStrideC1J], 61                // scale stride
_v_add_u32 v2, v2, s54                             // ROWINC- Move cinRowPtr to next row
s_mul_i32 s54, s[sgprStrideD1J], 61                // scale stride
_v_add_u32 v3, v3, s54                             // Move coutRowPtr to next row
v_cmp_lt_u32 s[54:55], v0, s[sgprSizeI]            // coord0 < size0
v_cmp_lt_u32 s[58:59], v1, s[sgprSizeJ]            // coord1 < size1
s_and_b64 s[58:59], s[54:55], s[58:59]             // in0 && in1
_v_add_lshl_u32 v59, v2, v0, 0x1                   // scaleToBpe: accumulate d0 lower and *= bpe into Cin addr
v_cndmask_b32 v59, -1, v59, s[58:59]               // LDC clip if OOB. offset
_v_add_lshl_u32 v58, v3, v0, 0x1                   // scaleToBpe: accumulate d0 lower and *= bpe into Cin addr
v_cndmask_b32 v58, -1, v58, s[58:59]               // LDD clip if OOB. offset
/* (d1,vc1,d0,vc0)=(3,0,0,1) */
_v_add_co_u32 v4, vcc, v0, 1                       // coord0.1: coord0 += d0*sg0*VW + vc0
v_cmp_lt_u32 s[54:55], v4, s[sgprSizeI]            // coord0 < size0
v_cmp_lt_u32 s[58:59], v1, s[sgprSizeJ]            // coord1 < size1
s_and_b64 s[58:59], s[54:55], s[58:59]             // in0 && in1
_v_add_lshl_u32 v63, v2, v4, 0x1                   // scaleToBpe: accumulate d0 lower and *= bpe into Cin addr
v_cndmask_b32 v63, -1, v63, s[58:59]               // LDC clip if OOB. offset
_v_add_lshl_u32 v62, v3, v4, 0x1                   // scaleToBpe: accumulate d0 lower and *= bpe into Cin addr
v_cndmask_b32 v62, -1, v62, s[58:59]               // LDD clip if OOB. offset
/* (d1,vc1,d0,vc0)=(3,0,0,2) */
_v_add_co_u32 v4, vcc, v0, 2                       // coord0.1: coord0 += d0*sg0*VW + vc0
	;; [unrolled: 9-line block ×3, first 2 shown]
v_cmp_lt_u32 s[54:55], v4, s[sgprSizeI]            // coord0 < size0
v_cmp_lt_u32 s[58:59], v1, s[sgprSizeJ]            // coord1 < size1
s_and_b64 s[58:59], s[54:55], s[58:59]             // in0 && in1
_v_add_lshl_u32 v71, v2, v4, 0x1                   // scaleToBpe: accumulate d0 lower and *= bpe into Cin addr
v_cndmask_b32 v71, -1, v71, s[58:59]               // LDC clip if OOB. offset
_v_add_lshl_u32 v70, v3, v4, 0x1                   // scaleToBpe: accumulate d0 lower and *= bpe into Cin addr
v_cndmask_b32 v70, -1, v70, s[58:59]               // LDD clip if OOB. offset
/* (d1,vc1,d0,vc0)=(3,0,1,0) */
_v_add_co_u32 v4, vcc, v0, 64                      // coord0.1: coord0 += d0*sg0*VW + vc0
v_cmp_lt_u32 s[54:55], v4, s[sgprSizeI]            // coord0 < size0
v_cmp_lt_u32 s[58:59], v1, s[sgprSizeJ]            // coord1 < size1
s_and_b64 s[58:59], s[54:55], s[58:59]             // in0 && in1
_v_add_lshl_u32 v75, v2, v4, 0x1                   // scaleToBpe: accumulate d0 lower and *= bpe into Cin addr
v_cndmask_b32 v75, -1, v75, s[58:59]               // LDC clip if OOB. offset
_v_add_lshl_u32 v74, v3, v4, 0x1                   // scaleToBpe: accumulate d0 lower and *= bpe into Cin addr
v_cndmask_b32 v74, -1, v74, s[58:59]               // LDD clip if OOB. offset
/* (d1,vc1,d0,vc0)=(3,0,1,1) */
s_mov_b32 s54, 65                                  // coordOffset0 d0=1 vc0=1
_v_add_co_u32 v4, vcc, v0, s54                     // coord0.2: coord0 += d0*sg0*VW + vc0
v_cmp_lt_u32 s[54:55], v4, s[sgprSizeI]            // coord0 < size0
v_cmp_lt_u32 s[58:59], v1, s[sgprSizeJ]            // coord1 < size1
s_and_b64 s[58:59], s[54:55], s[58:59]             // in0 && in1
_v_add_lshl_u32 v79, v2, v4, 0x1                   // scaleToBpe: accumulate d0 lower and *= bpe into Cin addr
v_cndmask_b32 v79, -1, v79, s[58:59]               // LDC clip if OOB. offset
_v_add_lshl_u32 v78, v3, v4, 0x1                   // scaleToBpe: accumulate d0 lower and *= bpe into Cin addr
v_cndmask_b32 v78, -1, v78, s[58:59]               // LDD clip if OOB. offset
/* (d1,vc1,d0,vc0)=(3,0,1,2) */
s_mov_b32 s54, 66                                  // coordOffset0 d0=1 vc0=2
_v_add_co_u32 v4, vcc, v0, s54                     // coord0.2: coord0 += d0*sg0*VW + vc0
	;; [unrolled: 10-line block ×3, first 2 shown]
v_cmp_lt_u32 s[54:55], v4, s[sgprSizeI]            // coord0 < size0
v_cmp_lt_u32 s[58:59], v1, s[sgprSizeJ]            // coord1 < size1
s_and_b64 s[58:59], s[54:55], s[58:59]             // in0 && in1
_v_add_lshl_u32 v87, v2, v4, 0x1                   // scaleToBpe: accumulate d0 lower and *= bpe into Cin addr
v_cndmask_b32 v87, -1, v87, s[58:59]               // LDC clip if OOB. offset
_v_add_lshl_u32 v86, v3, v4, 0x1                   // scaleToBpe: accumulate d0 lower and *= bpe into Cin addr
v_cndmask_b32 v86, -1, v86, s[58:59]               // LDD clip if OOB. offset
/* (d1,vc1,d0,vc0)=(3,0,2,0) */
s_mov_b32 s54, 128                                 // coordOffset0 d0=2 vc0=0
_v_add_co_u32 v4, vcc, v0, s54                     // coord0.2: coord0 += d0*sg0*VW + vc0
v_cmp_lt_u32 s[54:55], v4, s[sgprSizeI]            // coord0 < size0
v_cmp_lt_u32 s[58:59], v1, s[sgprSizeJ]            // coord1 < size1
s_and_b64 s[58:59], s[54:55], s[58:59]             // in0 && in1
_v_add_lshl_u32 v91, v2, v4, 0x1                   // scaleToBpe: accumulate d0 lower and *= bpe into Cin addr
v_cndmask_b32 v91, -1, v91, s[58:59]               // LDC clip if OOB. offset
_v_add_lshl_u32 v90, v3, v4, 0x1                   // scaleToBpe: accumulate d0 lower and *= bpe into Cin addr
v_cndmask_b32 v90, -1, v90, s[58:59]               // LDD clip if OOB. offset
/* (d1,vc1,d0,vc0)=(3,0,2,1) */
s_mov_b32 s54, 129                                 // coordOffset0 d0=2 vc0=1
_v_add_co_u32 v4, vcc, v0, s54                     // coord0.2: coord0 += d0*sg0*VW + vc0
	;; [unrolled: 10-line block ×4, first 2 shown]
v_cmp_lt_u32 s[54:55], v4, s[sgprSizeI]            // coord0 < size0
v_cmp_lt_u32 s[58:59], v1, s[sgprSizeJ]            // coord1 < size1
s_and_b64 s[58:59], s[54:55], s[58:59]             // in0 && in1
_v_add_lshl_u32 v103, v2, v4, 0x1                  // scaleToBpe: accumulate d0 lower and *= bpe into Cin addr
v_cndmask_b32 v103, -1, v103, s[58:59]             // LDC clip if OOB. offset
_v_add_lshl_u32 v102, v3, v4, 0x1                  // scaleToBpe: accumulate d0 lower and *= bpe into Cin addr
v_cndmask_b32 v102, -1, v102, s[58:59]             // LDD clip if OOB. offset
/* (d1,vc1,d0,vc0)=(3,0,3,0) */
s_mov_b32 s54, 192                                 // coordOffset0 d0=3 vc0=0
_v_add_co_u32 v4, vcc, v0, s54                     // coord0.2: coord0 += d0*sg0*VW + vc0
v_cmp_lt_u32 s[54:55], v4, s[sgprSizeI]            // coord0 < size0
v_cmp_lt_u32 s[58:59], v1, s[sgprSizeJ]            // coord1 < size1
s_and_b64 s[58:59], s[54:55], s[58:59]             // in0 && in1
_v_add_lshl_u32 v107, v2, v4, 0x1                  // scaleToBpe: accumulate d0 lower and *= bpe into Cin addr
v_cndmask_b32 v107, -1, v107, s[58:59]             // LDC clip if OOB. offset
_v_add_lshl_u32 v106, v3, v4, 0x1                  // scaleToBpe: accumulate d0 lower and *= bpe into Cin addr
v_cndmask_b32 v106, -1, v106, s[58:59]             // LDD clip if OOB. offset
/* (d1,vc1,d0,vc0)=(3,0,3,1) */
s_mov_b32 s54, 193                                 // coordOffset0 d0=3 vc0=1
_v_add_co_u32 v4, vcc, v0, s54                     // coord0.2: coord0 += d0*sg0*VW + vc0
	;; [unrolled: 10-line block ×4, first 2 shown]
v_cmp_lt_u32 s[54:55], v4, s[sgprSizeI]            // coord0 < size0
v_cmp_lt_u32 s[58:59], v1, s[sgprSizeJ]            // coord1 < size1
s_and_b64 s[58:59], s[54:55], s[58:59]             // in0 && in1
_v_add_lshl_u32 v122, v2, v4, 0x1                  // scaleToBpe: accumulate d0 lower and *= bpe into Cin addr
v_cndmask_b32 v122, -1, v122, s[58:59]             // LDC clip if OOB. offset
_v_add_lshl_u32 v121, v3, v4, 0x1                  // scaleToBpe: accumulate d0 lower and *= bpe into Cin addr
v_cndmask_b32 v121, -1, v121, s[58:59]             // LDD clip if OOB. offset
/* (d1,vc1,d0,vc0)=(3,1,0,0) */
_v_add_co_u32 v1, vcc, v1, 1                       // coord1.1: coord1Vgpr += d1*sg1*VW + vc1

/* Fix for UseInitialStridesCD, emitAddressSetupCode */
_v_add_u32 v2, v2, s[sgprStrideC1J]                // ROWINC- Move cinRowPtr to next row
_v_add_u32 v3, v3, s[sgprStrideD1J]                // Move coutRowPtr to next row
v_cmp_lt_u32 s[54:55], v0, s[sgprSizeI]            // coord0 < size0
v_cmp_lt_u32 s[58:59], v1, s[sgprSizeJ]            // coord1 < size1
s_and_b64 s[58:59], s[54:55], s[58:59]             // in0 && in1
_v_add_lshl_u32 v126, v2, v0, 0x1                  // scaleToBpe: accumulate d0 lower and *= bpe into Cin addr
v_cndmask_b32 v126, -1, v126, s[58:59]             // LDC clip if OOB. offset
_v_add_lshl_u32 v125, v3, v0, 0x1                  // scaleToBpe: accumulate d0 lower and *= bpe into Cin addr
v_cndmask_b32 v125, -1, v125, s[58:59]             // LDD clip if OOB. offset
/* (d1,vc1,d0,vc0)=(3,1,0,1) */
_v_add_co_u32 v4, vcc, v0, 1                       // coord0.1: coord0 += d0*sg0*VW + vc0
v_cmp_lt_u32 s[54:55], v4, s[sgprSizeI]            // coord0 < size0
v_cmp_lt_u32 s[58:59], v1, s[sgprSizeJ]            // coord1 < size1
s_and_b64 s[58:59], s[54:55], s[58:59]             // in0 && in1
_v_add_lshl_u32 v130, v2, v4, 0x1                  // scaleToBpe: accumulate d0 lower and *= bpe into Cin addr
v_cndmask_b32 v130, -1, v130, s[58:59]             // LDC clip if OOB. offset
_v_add_lshl_u32 v129, v3, v4, 0x1                  // scaleToBpe: accumulate d0 lower and *= bpe into Cin addr
v_cndmask_b32 v129, -1, v129, s[58:59]             // LDD clip if OOB. offset
/* (d1,vc1,d0,vc0)=(3,1,0,2) */
_v_add_co_u32 v4, vcc, v0, 2                       // coord0.1: coord0 += d0*sg0*VW + vc0
	;; [unrolled: 9-line block ×3, first 2 shown]
v_cmp_lt_u32 s[54:55], v4, s[sgprSizeI]            // coord0 < size0
v_cmp_lt_u32 s[58:59], v1, s[sgprSizeJ]            // coord1 < size1
s_and_b64 s[58:59], s[54:55], s[58:59]             // in0 && in1
_v_add_lshl_u32 v138, v2, v4, 0x1                  // scaleToBpe: accumulate d0 lower and *= bpe into Cin addr
v_cndmask_b32 v138, -1, v138, s[58:59]             // LDC clip if OOB. offset
_v_add_lshl_u32 v137, v3, v4, 0x1                  // scaleToBpe: accumulate d0 lower and *= bpe into Cin addr
v_cndmask_b32 v137, -1, v137, s[58:59]             // LDD clip if OOB. offset
/* (d1,vc1,d0,vc0)=(3,1,1,0) */
_v_add_co_u32 v4, vcc, v0, 64                      // coord0.1: coord0 += d0*sg0*VW + vc0
v_cmp_lt_u32 s[54:55], v4, s[sgprSizeI]            // coord0 < size0
v_cmp_lt_u32 s[58:59], v1, s[sgprSizeJ]            // coord1 < size1
s_and_b64 s[58:59], s[54:55], s[58:59]             // in0 && in1
_v_add_lshl_u32 v142, v2, v4, 0x1                  // scaleToBpe: accumulate d0 lower and *= bpe into Cin addr
v_cndmask_b32 v142, -1, v142, s[58:59]             // LDC clip if OOB. offset
_v_add_lshl_u32 v141, v3, v4, 0x1                  // scaleToBpe: accumulate d0 lower and *= bpe into Cin addr
v_cndmask_b32 v141, -1, v141, s[58:59]             // LDD clip if OOB. offset
/* (d1,vc1,d0,vc0)=(3,1,1,1) */
s_mov_b32 s54, 65                                  // coordOffset0 d0=1 vc0=1
_v_add_co_u32 v4, vcc, v0, s54                     // coord0.2: coord0 += d0*sg0*VW + vc0
v_cmp_lt_u32 s[54:55], v4, s[sgprSizeI]            // coord0 < size0
v_cmp_lt_u32 s[58:59], v1, s[sgprSizeJ]            // coord1 < size1
s_and_b64 s[58:59], s[54:55], s[58:59]             // in0 && in1
_v_add_lshl_u32 v146, v2, v4, 0x1                  // scaleToBpe: accumulate d0 lower and *= bpe into Cin addr
v_cndmask_b32 v146, -1, v146, s[58:59]             // LDC clip if OOB. offset
_v_add_lshl_u32 v145, v3, v4, 0x1                  // scaleToBpe: accumulate d0 lower and *= bpe into Cin addr
v_cndmask_b32 v145, -1, v145, s[58:59]             // LDD clip if OOB. offset
/* (d1,vc1,d0,vc0)=(3,1,1,2) */
s_mov_b32 s54, 66                                  // coordOffset0 d0=1 vc0=2
_v_add_co_u32 v4, vcc, v0, s54                     // coord0.2: coord0 += d0*sg0*VW + vc0
	;; [unrolled: 10-line block ×3, first 2 shown]
v_cmp_lt_u32 s[54:55], v4, s[sgprSizeI]            // coord0 < size0
v_cmp_lt_u32 s[58:59], v1, s[sgprSizeJ]            // coord1 < size1
s_and_b64 s[58:59], s[54:55], s[58:59]             // in0 && in1
_v_add_lshl_u32 v154, v2, v4, 0x1                  // scaleToBpe: accumulate d0 lower and *= bpe into Cin addr
v_cndmask_b32 v154, -1, v154, s[58:59]             // LDC clip if OOB. offset
_v_add_lshl_u32 v153, v3, v4, 0x1                  // scaleToBpe: accumulate d0 lower and *= bpe into Cin addr
v_cndmask_b32 v153, -1, v153, s[58:59]             // LDD clip if OOB. offset
/* (d1,vc1,d0,vc0)=(3,1,2,0) */
s_mov_b32 s54, 128                                 // coordOffset0 d0=2 vc0=0
_v_add_co_u32 v4, vcc, v0, s54                     // coord0.2: coord0 += d0*sg0*VW + vc0
v_cmp_lt_u32 s[54:55], v4, s[sgprSizeI]            // coord0 < size0
v_cmp_lt_u32 s[58:59], v1, s[sgprSizeJ]            // coord1 < size1
s_and_b64 s[58:59], s[54:55], s[58:59]             // in0 && in1
_v_add_lshl_u32 v158, v2, v4, 0x1                  // scaleToBpe: accumulate d0 lower and *= bpe into Cin addr
v_cndmask_b32 v158, -1, v158, s[58:59]             // LDC clip if OOB. offset
_v_add_lshl_u32 v157, v3, v4, 0x1                  // scaleToBpe: accumulate d0 lower and *= bpe into Cin addr
v_cndmask_b32 v157, -1, v157, s[58:59]             // LDD clip if OOB. offset
/* (d1,vc1,d0,vc0)=(3,1,2,1) */
s_mov_b32 s54, 129                                 // coordOffset0 d0=2 vc0=1
_v_add_co_u32 v4, vcc, v0, s54                     // coord0.2: coord0 += d0*sg0*VW + vc0
	;; [unrolled: 10-line block ×8, first 2 shown]
v_cmp_lt_u32 s[54:55], v4, s[sgprSizeI]            // coord0 < size0
v_cmp_lt_u32 s[58:59], v1, s[sgprSizeJ]            // coord1 < size1
s_and_b64 s[58:59], s[54:55], s[58:59]             // in0 && in1
_v_add_lshl_u32 v186, v2, v4, 0x1                  // scaleToBpe: accumulate d0 lower and *= bpe into Cin addr
v_cndmask_b32 v186, -1, v186, s[58:59]             // LDC clip if OOB. offset
_v_add_lshl_u32 v185, v3, v4, 0x1                  // scaleToBpe: accumulate d0 lower and *= bpe into Cin addr
v_cndmask_b32 v185, -1, v185, s[58:59]             // LDD clip if OOB. offset
/* (d1,vc1,d0,vc0)=(3,2,0,0) */
_v_add_co_u32 v1, vcc, v1, 1                       // coord1.1: coord1Vgpr += d1*sg1*VW + vc1

/* Fix for UseInitialStridesCD, emitAddressSetupCode */
_v_add_u32 v2, v2, s[sgprStrideC1J]                // ROWINC- Move cinRowPtr to next row
_v_add_u32 v3, v3, s[sgprStrideD1J]                // Move coutRowPtr to next row
v_cmp_lt_u32 s[54:55], v0, s[sgprSizeI]            // coord0 < size0
v_cmp_lt_u32 s[58:59], v1, s[sgprSizeJ]            // coord1 < size1
s_and_b64 s[58:59], s[54:55], s[58:59]             // in0 && in1
_v_add_lshl_u32 v190, v2, v0, 0x1                  // scaleToBpe: accumulate d0 lower and *= bpe into Cin addr
v_cndmask_b32 v190, -1, v190, s[58:59]             // LDC clip if OOB. offset
_v_add_lshl_u32 v189, v3, v0, 0x1                  // scaleToBpe: accumulate d0 lower and *= bpe into Cin addr
v_cndmask_b32 v189, -1, v189, s[58:59]             // LDD clip if OOB. offset
/* (d1,vc1,d0,vc0)=(3,2,0,1) */
_v_add_co_u32 v4, vcc, v0, 1                       // coord0.1: coord0 += d0*sg0*VW + vc0
v_cmp_lt_u32 s[54:55], v4, s[sgprSizeI]            // coord0 < size0
v_cmp_lt_u32 s[58:59], v1, s[sgprSizeJ]            // coord1 < size1
s_and_b64 s[58:59], s[54:55], s[58:59]             // in0 && in1
_v_add_lshl_u32 v194, v2, v4, 0x1                  // scaleToBpe: accumulate d0 lower and *= bpe into Cin addr
v_cndmask_b32 v194, -1, v194, s[58:59]             // LDC clip if OOB. offset
_v_add_lshl_u32 v193, v3, v4, 0x1                  // scaleToBpe: accumulate d0 lower and *= bpe into Cin addr
v_cndmask_b32 v193, -1, v193, s[58:59]             // LDD clip if OOB. offset
/* (d1,vc1,d0,vc0)=(3,2,0,2) */
_v_add_co_u32 v4, vcc, v0, 2                       // coord0.1: coord0 += d0*sg0*VW + vc0
	;; [unrolled: 9-line block ×3, first 2 shown]
v_cmp_lt_u32 s[54:55], v4, s[sgprSizeI]            // coord0 < size0
v_cmp_lt_u32 s[58:59], v1, s[sgprSizeJ]            // coord1 < size1
s_and_b64 s[58:59], s[54:55], s[58:59]             // in0 && in1
_v_add_lshl_u32 v202, v2, v4, 0x1                  // scaleToBpe: accumulate d0 lower and *= bpe into Cin addr
v_cndmask_b32 v202, -1, v202, s[58:59]             // LDC clip if OOB. offset
_v_add_lshl_u32 v201, v3, v4, 0x1                  // scaleToBpe: accumulate d0 lower and *= bpe into Cin addr
v_cndmask_b32 v201, -1, v201, s[58:59]             // LDD clip if OOB. offset
/* (d1,vc1,d0,vc0)=(3,2,1,0) */
_v_add_co_u32 v4, vcc, v0, 64                      // coord0.1: coord0 += d0*sg0*VW + vc0
v_cmp_lt_u32 s[54:55], v4, s[sgprSizeI]            // coord0 < size0
v_cmp_lt_u32 s[58:59], v1, s[sgprSizeJ]            // coord1 < size1
s_and_b64 s[58:59], s[54:55], s[58:59]             // in0 && in1
_v_add_lshl_u32 v206, v2, v4, 0x1                  // scaleToBpe: accumulate d0 lower and *= bpe into Cin addr
v_cndmask_b32 v206, -1, v206, s[58:59]             // LDC clip if OOB. offset
_v_add_lshl_u32 v205, v3, v4, 0x1                  // scaleToBpe: accumulate d0 lower and *= bpe into Cin addr
v_cndmask_b32 v205, -1, v205, s[58:59]             // LDD clip if OOB. offset
/* (d1,vc1,d0,vc0)=(3,2,1,1) */
s_mov_b32 s54, 65                                  // coordOffset0 d0=1 vc0=1
_v_add_co_u32 v4, vcc, v0, s54                     // coord0.2: coord0 += d0*sg0*VW + vc0
v_cmp_lt_u32 s[54:55], v4, s[sgprSizeI]            // coord0 < size0
v_cmp_lt_u32 s[58:59], v1, s[sgprSizeJ]            // coord1 < size1
s_and_b64 s[58:59], s[54:55], s[58:59]             // in0 && in1
_v_add_lshl_u32 v210, v2, v4, 0x1                  // scaleToBpe: accumulate d0 lower and *= bpe into Cin addr
v_cndmask_b32 v210, -1, v210, s[58:59]             // LDC clip if OOB. offset
_v_add_lshl_u32 v209, v3, v4, 0x1                  // scaleToBpe: accumulate d0 lower and *= bpe into Cin addr
v_cndmask_b32 v209, -1, v209, s[58:59]             // LDD clip if OOB. offset
/* (d1,vc1,d0,vc0)=(3,2,1,2) */
s_mov_b32 s54, 66                                  // coordOffset0 d0=1 vc0=2
_v_add_co_u32 v4, vcc, v0, s54                     // coord0.2: coord0 += d0*sg0*VW + vc0
	;; [unrolled: 10-line block ×3, first 2 shown]
v_cmp_lt_u32 s[54:55], v4, s[sgprSizeI]            // coord0 < size0
v_cmp_lt_u32 s[58:59], v1, s[sgprSizeJ]            // coord1 < size1
s_and_b64 s[58:59], s[54:55], s[58:59]             // in0 && in1
_v_add_lshl_u32 v218, v2, v4, 0x1                  // scaleToBpe: accumulate d0 lower and *= bpe into Cin addr
v_cndmask_b32 v218, -1, v218, s[58:59]             // LDC clip if OOB. offset
_v_add_lshl_u32 v217, v3, v4, 0x1                  // scaleToBpe: accumulate d0 lower and *= bpe into Cin addr
v_cndmask_b32 v217, -1, v217, s[58:59]             // LDD clip if OOB. offset
/* (d1,vc1,d0,vc0)=(3,2,2,0) */
s_mov_b32 s54, 128                                 // coordOffset0 d0=2 vc0=0
_v_add_co_u32 v4, vcc, v0, s54                     // coord0.2: coord0 += d0*sg0*VW + vc0
v_cmp_lt_u32 s[54:55], v4, s[sgprSizeI]            // coord0 < size0
v_cmp_lt_u32 s[58:59], v1, s[sgprSizeJ]            // coord1 < size1
s_and_b64 s[58:59], s[54:55], s[58:59]             // in0 && in1
_v_add_lshl_u32 v222, v2, v4, 0x1                  // scaleToBpe: accumulate d0 lower and *= bpe into Cin addr
v_cndmask_b32 v222, -1, v222, s[58:59]             // LDC clip if OOB. offset
_v_add_lshl_u32 v221, v3, v4, 0x1                  // scaleToBpe: accumulate d0 lower and *= bpe into Cin addr
v_cndmask_b32 v221, -1, v221, s[58:59]             // LDD clip if OOB. offset
/* (d1,vc1,d0,vc0)=(3,2,2,1) */
s_mov_b32 s54, 129                                 // coordOffset0 d0=2 vc0=1
_v_add_co_u32 v4, vcc, v0, s54                     // coord0.2: coord0 += d0*sg0*VW + vc0
	;; [unrolled: 10-line block ×8, first 2 shown]
v_cmp_lt_u32 s[54:55], v4, s[sgprSizeI]            // coord0 < size0
v_cmp_lt_u32 s[58:59], v1, s[sgprSizeJ]            // coord1 < size1
s_and_b64 s[58:59], s[54:55], s[58:59]             // in0 && in1
_v_add_lshl_u32 v250, v2, v4, 0x1                  // scaleToBpe: accumulate d0 lower and *= bpe into Cin addr
v_cndmask_b32 v250, -1, v250, s[58:59]             // LDC clip if OOB. offset
_v_add_lshl_u32 v249, v3, v4, 0x1                  // scaleToBpe: accumulate d0 lower and *= bpe into Cin addr
v_cndmask_b32 v249, -1, v249, s[58:59]             // LDD clip if OOB. offset
_buffer_load_d16_b16 v12, v11, s[sgprSrdC:sgprSrdC+3], 0, offen offset:0,  sc0 sc1 // load C for beta calc
_buffer_load_d16_b16 v16, v15, s[sgprSrdC:sgprSrdC+3], 0, offen offset:0,  sc0 sc1 // load C for beta calc
	;; [unrolled: 1-line block ×60, first 2 shown]
s_sleep 5 // optimization: sync and wait
s_barrier
v_accvgpr_read_b32 v[vgprValuC+13], acc147 // copy acc to vreg[180]
v_accvgpr_read_b32 v[vgprValuC+17], acc151 // copy acc to vreg[181]
v_accvgpr_read_b32 v[vgprValuC+21], acc155 // copy acc to vreg[182]
v_accvgpr_read_b32 v[vgprValuC+25], acc159 // copy acc to vreg[183]
v_accvgpr_read_b32 v[vgprValuC+29], acc163 // copy acc to vreg[184]
v_accvgpr_read_b32 v[vgprValuC+33], acc167 // copy acc to vreg[185]
v_accvgpr_read_b32 v[vgprValuC+37], acc171 // copy acc to vreg[186]
v_accvgpr_read_b32 v[vgprValuC+41], acc175 // copy acc to vreg[187]
v_accvgpr_read_b32 v[vgprValuC+45], acc179 // copy acc to vreg[188]
v_accvgpr_read_b32 v[vgprValuC+49], acc183 // copy acc to vreg[189]
v_accvgpr_read_b32 v[vgprValuC+53], acc187 // copy acc to vreg[190]
v_accvgpr_read_b32 v[vgprValuC+57], acc191 // copy acc to vreg[191]
v_accvgpr_read_b32 v[vgprValuC+61], acc192 // copy acc to vreg[192]
v_accvgpr_read_b32 v[vgprValuC+65], acc196 // copy acc to vreg[193]
v_accvgpr_read_b32 v[vgprValuC+69], acc200 // copy acc to vreg[194]
v_accvgpr_read_b32 v[vgprValuC+73], acc204 // copy acc to vreg[195]
v_accvgpr_read_b32 v[vgprValuC+77], acc208 // copy acc to vreg[196]
v_accvgpr_read_b32 v[vgprValuC+81], acc212 // copy acc to vreg[197]
v_accvgpr_read_b32 v[vgprValuC+85], acc216 // copy acc to vreg[198]
v_accvgpr_read_b32 v[vgprValuC+89], acc220 // copy acc to vreg[199]
v_accvgpr_read_b32 v[vgprValuC+93], acc224 // copy acc to vreg[200]
v_accvgpr_read_b32 v[vgprValuC+97], acc228 // copy acc to vreg[201]
v_accvgpr_read_b32 v[vgprValuC+101], acc232 // copy acc to vreg[202]
v_accvgpr_read_b32 v[vgprValuC+105], acc236 // copy acc to vreg[203]
v_accvgpr_read_b32 v[vgprValuC+109], acc240 // copy acc to vreg[204]
v_accvgpr_read_b32 v[vgprValuC+113], acc244 // copy acc to vreg[205]
v_accvgpr_read_b32 v[vgprValuC+120], acc248 // copy acc to vreg[206]
v_accvgpr_read_b32 v[vgprValuC+124], acc252 // copy acc to vreg[207]
v_accvgpr_read_b32 v[vgprValuC+128], acc193 // copy acc to vreg[208]
v_accvgpr_read_b32 v[vgprValuC+132], acc197 // copy acc to vreg[209]
v_accvgpr_read_b32 v[vgprValuC+136], acc201 // copy acc to vreg[210]
v_accvgpr_read_b32 v[vgprValuC+140], acc205 // copy acc to vreg[211]
v_accvgpr_read_b32 v[vgprValuC+144], acc209 // copy acc to vreg[212]
v_accvgpr_read_b32 v[vgprValuC+148], acc213 // copy acc to vreg[213]
v_accvgpr_read_b32 v[vgprValuC+152], acc217 // copy acc to vreg[214]
v_accvgpr_read_b32 v[vgprValuC+156], acc221 // copy acc to vreg[215]
v_accvgpr_read_b32 v[vgprValuC+160], acc225 // copy acc to vreg[216]
v_accvgpr_read_b32 v[vgprValuC+164], acc229 // copy acc to vreg[217]
v_accvgpr_read_b32 v[vgprValuC+168], acc233 // copy acc to vreg[218]
v_accvgpr_read_b32 v[vgprValuC+172], acc237 // copy acc to vreg[219]
v_accvgpr_read_b32 v[vgprValuC+176], acc241 // copy acc to vreg[220]
v_accvgpr_read_b32 v[vgprValuC+180], acc245 // copy acc to vreg[221]
v_accvgpr_read_b32 v[vgprValuC+184], acc249 // copy acc to vreg[222]
v_accvgpr_read_b32 v[vgprValuC+188], acc253 // copy acc to vreg[223]
v_accvgpr_read_b32 v[vgprValuC+192], acc194 // copy acc to vreg[224]
v_accvgpr_read_b32 v[vgprValuC+196], acc198 // copy acc to vreg[225]
v_accvgpr_read_b32 v[vgprValuC+200], acc202 // copy acc to vreg[226]
v_accvgpr_read_b32 v[vgprValuC+204], acc206 // copy acc to vreg[227]
v_accvgpr_read_b32 v[vgprValuC+208], acc210 // copy acc to vreg[228]
v_accvgpr_read_b32 v[vgprValuC+212], acc214 // copy acc to vreg[229]
v_accvgpr_read_b32 v[vgprValuC+216], acc218 // copy acc to vreg[230]
v_accvgpr_read_b32 v[vgprValuC+220], acc222 // copy acc to vreg[231]
v_accvgpr_read_b32 v[vgprValuC+224], acc226 // copy acc to vreg[232]
v_accvgpr_read_b32 v[vgprValuC+228], acc230 // copy acc to vreg[233]
v_accvgpr_read_b32 v[vgprValuC+232], acc234 // copy acc to vreg[234]
v_accvgpr_read_b32 v[vgprValuC+236], acc238 // copy acc to vreg[235]
v_accvgpr_read_b32 v[vgprValuC+240], acc242 // copy acc to vreg[236]
v_accvgpr_read_b32 v[vgprValuC+244], acc246 // copy acc to vreg[237]
v_accvgpr_read_b32 v[vgprValuC+248], acc250 // copy acc to vreg[238]
v_accvgpr_read_b32 v[vgprValuC+252], acc254 // copy acc to vreg[239]
s_nop 1                                            // 2 wait states required before reading vgpr

/* rC *= alpha batchElements=[(2, 1, 3, 0), (2, 1, 3, 1), (2, 1, 3, 2), (2, 1, 3, 3), (2, 2, 3, 0), (2, 2, 3, 1), (2, 2, 3, 2), (2, 2, 3, 3), (2, 3, 3, 0), (2, 3, 3, 1), (2, 3, 3, 2), (2, 3, 3, 3), (3, 0, 0, 0), (3, 0, 0, 1), (3, 0, 0, 2), (3, 0, 0, 3), (3, 1, 0, 0), (3, 1, 0, 1), (3, 1, 0, 2), (3, 1, 0, 3), (3, 2, 0, 0), (3, 2, 0, 1), (3, 2, 0, 2), (3, 2, 0, 3), (3, 3, 0, 0), (3, 3, 0, 1), (3, 3, 0, 2), (3, 3, 0, 3), (3, 0, 1, 0), (3, 0, 1, 1), (3, 0, 1, 2), (3, 0, 1, 3), (3, 1, 1, 0), (3, 1, 1, 1), (3, 1, 1, 2), (3, 1, 1, 3), (3, 2, 1, 0), (3, 2, 1, 1), (3, 2, 1, 2), (3, 2, 1, 3), (3, 3, 1, 0), (3, 3, 1, 1), (3, 3, 1, 2), (3, 3, 1, 3), (3, 0, 2, 0), (3, 0, 2, 1), (3, 0, 2, 2), (3, 0, 2, 3), (3, 1, 2, 0), (3, 1, 2, 1), (3, 1, 2, 2), (3, 1, 2, 3), (3, 2, 2, 0), (3, 2, 2, 1), (3, 2, 2, 2), (3, 2, 2, 3), (3, 3, 2, 0), (3, 3, 2, 1), (3, 3, 2, 2), (3, 3, 2, 3)] */
v_mul_f32 v[vgprValuC+13], s[sgprAlpha], v[vgprValuC+13] // *= alpha
v_mul_f32 v[vgprValuC+17], s[sgprAlpha], v[vgprValuC+17] // *= alpha
v_mul_f32 v[vgprValuC+21], s[sgprAlpha], v[vgprValuC+21] // *= alpha
v_mul_f32 v[vgprValuC+25], s[sgprAlpha], v[vgprValuC+25] // *= alpha
v_mul_f32 v[vgprValuC+29], s[sgprAlpha], v[vgprValuC+29] // *= alpha
v_mul_f32 v[vgprValuC+33], s[sgprAlpha], v[vgprValuC+33] // *= alpha
v_mul_f32 v[vgprValuC+37], s[sgprAlpha], v[vgprValuC+37] // *= alpha
v_mul_f32 v[vgprValuC+41], s[sgprAlpha], v[vgprValuC+41] // *= alpha
v_mul_f32 v[vgprValuC+45], s[sgprAlpha], v[vgprValuC+45] // *= alpha
v_mul_f32 v[vgprValuC+49], s[sgprAlpha], v[vgprValuC+49] // *= alpha
v_mul_f32 v[vgprValuC+53], s[sgprAlpha], v[vgprValuC+53] // *= alpha
v_mul_f32 v[vgprValuC+57], s[sgprAlpha], v[vgprValuC+57] // *= alpha
v_mul_f32 v[vgprValuC+61], s[sgprAlpha], v[vgprValuC+61] // *= alpha
v_mul_f32 v[vgprValuC+65], s[sgprAlpha], v[vgprValuC+65] // *= alpha
v_mul_f32 v[vgprValuC+69], s[sgprAlpha], v[vgprValuC+69] // *= alpha
v_mul_f32 v[vgprValuC+73], s[sgprAlpha], v[vgprValuC+73] // *= alpha
v_mul_f32 v[vgprValuC+77], s[sgprAlpha], v[vgprValuC+77] // *= alpha
v_mul_f32 v[vgprValuC+81], s[sgprAlpha], v[vgprValuC+81] // *= alpha
v_mul_f32 v[vgprValuC+85], s[sgprAlpha], v[vgprValuC+85] // *= alpha
v_mul_f32 v[vgprValuC+89], s[sgprAlpha], v[vgprValuC+89] // *= alpha
v_mul_f32 v[vgprValuC+93], s[sgprAlpha], v[vgprValuC+93] // *= alpha
v_mul_f32 v[vgprValuC+97], s[sgprAlpha], v[vgprValuC+97] // *= alpha
v_mul_f32 v[vgprValuC+101], s[sgprAlpha], v[vgprValuC+101] // *= alpha
v_mul_f32 v[vgprValuC+105], s[sgprAlpha], v[vgprValuC+105] // *= alpha
v_mul_f32 v[vgprValuC+109], s[sgprAlpha], v[vgprValuC+109] // *= alpha
v_mul_f32 v[vgprValuC+113], s[sgprAlpha], v[vgprValuC+113] // *= alpha
v_mul_f32 v[vgprValuC+120], s[sgprAlpha], v[vgprValuC+120] // *= alpha
v_mul_f32 v[vgprValuC+124], s[sgprAlpha], v[vgprValuC+124] // *= alpha
v_mul_f32 v[vgprValuC+128], s[sgprAlpha], v[vgprValuC+128] // *= alpha
v_mul_f32 v[vgprValuC+132], s[sgprAlpha], v[vgprValuC+132] // *= alpha
v_mul_f32 v[vgprValuC+136], s[sgprAlpha], v[vgprValuC+136] // *= alpha
v_mul_f32 v[vgprValuC+140], s[sgprAlpha], v[vgprValuC+140] // *= alpha
v_mul_f32 v[vgprValuC+144], s[sgprAlpha], v[vgprValuC+144] // *= alpha
v_mul_f32 v[vgprValuC+148], s[sgprAlpha], v[vgprValuC+148] // *= alpha
v_mul_f32 v[vgprValuC+152], s[sgprAlpha], v[vgprValuC+152] // *= alpha
v_mul_f32 v[vgprValuC+156], s[sgprAlpha], v[vgprValuC+156] // *= alpha
v_mul_f32 v[vgprValuC+160], s[sgprAlpha], v[vgprValuC+160] // *= alpha
v_mul_f32 v[vgprValuC+164], s[sgprAlpha], v[vgprValuC+164] // *= alpha
v_mul_f32 v[vgprValuC+168], s[sgprAlpha], v[vgprValuC+168] // *= alpha
v_mul_f32 v[vgprValuC+172], s[sgprAlpha], v[vgprValuC+172] // *= alpha
v_mul_f32 v[vgprValuC+176], s[sgprAlpha], v[vgprValuC+176] // *= alpha
v_mul_f32 v[vgprValuC+180], s[sgprAlpha], v[vgprValuC+180] // *= alpha
v_mul_f32 v[vgprValuC+184], s[sgprAlpha], v[vgprValuC+184] // *= alpha
v_mul_f32 v[vgprValuC+188], s[sgprAlpha], v[vgprValuC+188] // *= alpha
v_mul_f32 v[vgprValuC+192], s[sgprAlpha], v[vgprValuC+192] // *= alpha
v_mul_f32 v[vgprValuC+196], s[sgprAlpha], v[vgprValuC+196] // *= alpha
v_mul_f32 v[vgprValuC+200], s[sgprAlpha], v[vgprValuC+200] // *= alpha
v_mul_f32 v[vgprValuC+204], s[sgprAlpha], v[vgprValuC+204] // *= alpha
v_mul_f32 v[vgprValuC+208], s[sgprAlpha], v[vgprValuC+208] // *= alpha
v_mul_f32 v[vgprValuC+212], s[sgprAlpha], v[vgprValuC+212] // *= alpha
v_mul_f32 v[vgprValuC+216], s[sgprAlpha], v[vgprValuC+216] // *= alpha
v_mul_f32 v[vgprValuC+220], s[sgprAlpha], v[vgprValuC+220] // *= alpha
v_mul_f32 v[vgprValuC+224], s[sgprAlpha], v[vgprValuC+224] // *= alpha
v_mul_f32 v[vgprValuC+228], s[sgprAlpha], v[vgprValuC+228] // *= alpha
v_mul_f32 v[vgprValuC+232], s[sgprAlpha], v[vgprValuC+232] // *= alpha
v_mul_f32 v[vgprValuC+236], s[sgprAlpha], v[vgprValuC+236] // *= alpha
v_mul_f32 v[vgprValuC+240], s[sgprAlpha], v[vgprValuC+240] // *= alpha
v_mul_f32 v[vgprValuC+244], s[sgprAlpha], v[vgprValuC+244] // *= alpha
v_mul_f32 v[vgprValuC+248], s[sgprAlpha], v[vgprValuC+248] // *= alpha
v_mul_f32 v[vgprValuC+252], s[sgprAlpha], v[vgprValuC+252] // *= alpha
s_waitcnt vmcnt(0)                                 // wait C

/* apply mask, calc new C and issue writes */
v_mov_b32 v7, 0xffff0000                           // mask for pack two bfloat16 element to 32bit
v_mov_b32 v8, 0x7fff0000                           // fp32 Nan
v_mov_b32 v9, 0x7fff                               // rounding bias for bfloat16
v_lshlrev_b32 v4, 16, v12                          // convert bf16 to fp32
_v_mac_f32 v[vgprValuC+13], v4, s[sgprBeta]        // finalSum = sum*alpha + C*beta
v_cmp_u_f32 s[54:55], v[vgprValuC+13], v[vgprValuC+13] // check Nan
v_bfe_u32 v6, v[vgprValuC+13], 16, 1               // Non-Nan case: store lsb of bf16
v_add3_u32 v6, v[vgprValuC+13], v6, v9             // Non-Nan case: add lsb and the increment for rounding
v_cndmask_b32 v[vgprValuC+13], v6, v8, s[54:55]    // 
v_lshrrev_b32 v[vgprValuC+13], 16, v[vgprValuC+13] // convert C to bf16
v_lshlrev_b32 v4, 16, v16                          // convert bf16 to fp32
_v_mac_f32 v[vgprValuC+17], v4, s[sgprBeta]        // finalSum = sum*alpha + C*beta
v_cmp_u_f32 s[54:55], v[vgprValuC+17], v[vgprValuC+17] // check Nan
v_bfe_u32 v6, v[vgprValuC+17], 16, 1               // Non-Nan case: store lsb of bf16
v_add3_u32 v6, v[vgprValuC+17], v6, v9             // Non-Nan case: add lsb and the increment for rounding
v_cndmask_b32 v[vgprValuC+17], v6, v8, s[54:55]    // 
v_lshrrev_b32 v[vgprValuC+17], 16, v[vgprValuC+17] // convert C to bf16
v_lshlrev_b32 v4, 16, v20                          // convert bf16 to fp32
_v_mac_f32 v[vgprValuC+21], v4, s[sgprBeta]        // finalSum = sum*alpha + C*beta
v_cmp_u_f32 s[54:55], v[vgprValuC+21], v[vgprValuC+21] // check Nan
v_bfe_u32 v6, v[vgprValuC+21], 16, 1               // Non-Nan case: store lsb of bf16
v_add3_u32 v6, v[vgprValuC+21], v6, v9             // Non-Nan case: add lsb and the increment for rounding
v_cndmask_b32 v[vgprValuC+21], v6, v8, s[54:55]    // 
v_lshrrev_b32 v[vgprValuC+21], 16, v[vgprValuC+21] // convert C to bf16
v_lshlrev_b32 v4, 16, v24                          // convert bf16 to fp32
_v_mac_f32 v[vgprValuC+25], v4, s[sgprBeta]        // finalSum = sum*alpha + C*beta
v_cmp_u_f32 s[54:55], v[vgprValuC+25], v[vgprValuC+25] // check Nan
v_bfe_u32 v6, v[vgprValuC+25], 16, 1               // Non-Nan case: store lsb of bf16
v_add3_u32 v6, v[vgprValuC+25], v6, v9             // Non-Nan case: add lsb and the increment for rounding
v_cndmask_b32 v[vgprValuC+25], v6, v8, s[54:55]    // 
v_lshrrev_b32 v[vgprValuC+25], 16, v[vgprValuC+25] // convert C to bf16
v_lshlrev_b32 v4, 16, v28                          // convert bf16 to fp32
_v_mac_f32 v[vgprValuC+29], v4, s[sgprBeta]        // finalSum = sum*alpha + C*beta
v_cmp_u_f32 s[54:55], v[vgprValuC+29], v[vgprValuC+29] // check Nan
v_bfe_u32 v6, v[vgprValuC+29], 16, 1               // Non-Nan case: store lsb of bf16
v_add3_u32 v6, v[vgprValuC+29], v6, v9             // Non-Nan case: add lsb and the increment for rounding
v_cndmask_b32 v[vgprValuC+29], v6, v8, s[54:55]    // 
v_lshrrev_b32 v[vgprValuC+29], 16, v[vgprValuC+29] // convert C to bf16
v_lshlrev_b32 v4, 16, v32                          // convert bf16 to fp32
_v_mac_f32 v[vgprValuC+33], v4, s[sgprBeta]        // finalSum = sum*alpha + C*beta
v_cmp_u_f32 s[54:55], v[vgprValuC+33], v[vgprValuC+33] // check Nan
v_bfe_u32 v6, v[vgprValuC+33], 16, 1               // Non-Nan case: store lsb of bf16
v_add3_u32 v6, v[vgprValuC+33], v6, v9             // Non-Nan case: add lsb and the increment for rounding
v_cndmask_b32 v[vgprValuC+33], v6, v8, s[54:55]    // 
v_lshrrev_b32 v[vgprValuC+33], 16, v[vgprValuC+33] // convert C to bf16
v_lshlrev_b32 v4, 16, v36                          // convert bf16 to fp32
_v_mac_f32 v[vgprValuC+37], v4, s[sgprBeta]        // finalSum = sum*alpha + C*beta
v_cmp_u_f32 s[54:55], v[vgprValuC+37], v[vgprValuC+37] // check Nan
v_bfe_u32 v6, v[vgprValuC+37], 16, 1               // Non-Nan case: store lsb of bf16
v_add3_u32 v6, v[vgprValuC+37], v6, v9             // Non-Nan case: add lsb and the increment for rounding
v_cndmask_b32 v[vgprValuC+37], v6, v8, s[54:55]    // 
v_lshrrev_b32 v[vgprValuC+37], 16, v[vgprValuC+37] // convert C to bf16
v_lshlrev_b32 v4, 16, v40                          // convert bf16 to fp32
_v_mac_f32 v[vgprValuC+41], v4, s[sgprBeta]        // finalSum = sum*alpha + C*beta
v_cmp_u_f32 s[54:55], v[vgprValuC+41], v[vgprValuC+41] // check Nan
v_bfe_u32 v6, v[vgprValuC+41], 16, 1               // Non-Nan case: store lsb of bf16
v_add3_u32 v6, v[vgprValuC+41], v6, v9             // Non-Nan case: add lsb and the increment for rounding
v_cndmask_b32 v[vgprValuC+41], v6, v8, s[54:55]    // 
v_lshrrev_b32 v[vgprValuC+41], 16, v[vgprValuC+41] // convert C to bf16
v_lshlrev_b32 v4, 16, v44                          // convert bf16 to fp32
_v_mac_f32 v[vgprValuC+45], v4, s[sgprBeta]        // finalSum = sum*alpha + C*beta
v_cmp_u_f32 s[54:55], v[vgprValuC+45], v[vgprValuC+45] // check Nan
v_bfe_u32 v6, v[vgprValuC+45], 16, 1               // Non-Nan case: store lsb of bf16
v_add3_u32 v6, v[vgprValuC+45], v6, v9             // Non-Nan case: add lsb and the increment for rounding
v_cndmask_b32 v[vgprValuC+45], v6, v8, s[54:55]    // 
v_lshrrev_b32 v[vgprValuC+45], 16, v[vgprValuC+45] // convert C to bf16
v_lshlrev_b32 v4, 16, v48                          // convert bf16 to fp32
_v_mac_f32 v[vgprValuC+49], v4, s[sgprBeta]        // finalSum = sum*alpha + C*beta
v_cmp_u_f32 s[54:55], v[vgprValuC+49], v[vgprValuC+49] // check Nan
v_bfe_u32 v6, v[vgprValuC+49], 16, 1               // Non-Nan case: store lsb of bf16
v_add3_u32 v6, v[vgprValuC+49], v6, v9             // Non-Nan case: add lsb and the increment for rounding
v_cndmask_b32 v[vgprValuC+49], v6, v8, s[54:55]    // 
v_lshrrev_b32 v[vgprValuC+49], 16, v[vgprValuC+49] // convert C to bf16
v_lshlrev_b32 v4, 16, v52                          // convert bf16 to fp32
_v_mac_f32 v[vgprValuC+53], v4, s[sgprBeta]        // finalSum = sum*alpha + C*beta
v_cmp_u_f32 s[54:55], v[vgprValuC+53], v[vgprValuC+53] // check Nan
v_bfe_u32 v6, v[vgprValuC+53], 16, 1               // Non-Nan case: store lsb of bf16
v_add3_u32 v6, v[vgprValuC+53], v6, v9             // Non-Nan case: add lsb and the increment for rounding
v_cndmask_b32 v[vgprValuC+53], v6, v8, s[54:55]    // 
v_lshrrev_b32 v[vgprValuC+53], 16, v[vgprValuC+53] // convert C to bf16
v_lshlrev_b32 v4, 16, v56                          // convert bf16 to fp32
_v_mac_f32 v[vgprValuC+57], v4, s[sgprBeta]        // finalSum = sum*alpha + C*beta
v_cmp_u_f32 s[54:55], v[vgprValuC+57], v[vgprValuC+57] // check Nan
v_bfe_u32 v6, v[vgprValuC+57], 16, 1               // Non-Nan case: store lsb of bf16
v_add3_u32 v6, v[vgprValuC+57], v6, v9             // Non-Nan case: add lsb and the increment for rounding
v_cndmask_b32 v[vgprValuC+57], v6, v8, s[54:55]    // 
v_lshrrev_b32 v[vgprValuC+57], 16, v[vgprValuC+57] // convert C to bf16
v_lshlrev_b32 v4, 16, v60                          // convert bf16 to fp32
_v_mac_f32 v[vgprValuC+61], v4, s[sgprBeta]        // finalSum = sum*alpha + C*beta
v_cmp_u_f32 s[54:55], v[vgprValuC+61], v[vgprValuC+61] // check Nan
v_bfe_u32 v6, v[vgprValuC+61], 16, 1               // Non-Nan case: store lsb of bf16
v_add3_u32 v6, v[vgprValuC+61], v6, v9             // Non-Nan case: add lsb and the increment for rounding
v_cndmask_b32 v[vgprValuC+61], v6, v8, s[54:55]    // 
v_lshrrev_b32 v[vgprValuC+61], 16, v[vgprValuC+61] // convert C to bf16
v_lshlrev_b32 v4, 16, v64                          // convert bf16 to fp32
_v_mac_f32 v[vgprValuC+65], v4, s[sgprBeta]        // finalSum = sum*alpha + C*beta
v_cmp_u_f32 s[54:55], v[vgprValuC+65], v[vgprValuC+65] // check Nan
v_bfe_u32 v6, v[vgprValuC+65], 16, 1               // Non-Nan case: store lsb of bf16
v_add3_u32 v6, v[vgprValuC+65], v6, v9             // Non-Nan case: add lsb and the increment for rounding
v_cndmask_b32 v[vgprValuC+65], v6, v8, s[54:55]    // 
v_lshrrev_b32 v[vgprValuC+65], 16, v[vgprValuC+65] // convert C to bf16
v_lshlrev_b32 v4, 16, v68                          // convert bf16 to fp32
_v_mac_f32 v[vgprValuC+69], v4, s[sgprBeta]        // finalSum = sum*alpha + C*beta
v_cmp_u_f32 s[54:55], v[vgprValuC+69], v[vgprValuC+69] // check Nan
v_bfe_u32 v6, v[vgprValuC+69], 16, 1               // Non-Nan case: store lsb of bf16
v_add3_u32 v6, v[vgprValuC+69], v6, v9             // Non-Nan case: add lsb and the increment for rounding
v_cndmask_b32 v[vgprValuC+69], v6, v8, s[54:55]    // 
v_lshrrev_b32 v[vgprValuC+69], 16, v[vgprValuC+69] // convert C to bf16
v_lshlrev_b32 v4, 16, v72                          // convert bf16 to fp32
_v_mac_f32 v[vgprValuC+73], v4, s[sgprBeta]        // finalSum = sum*alpha + C*beta
v_cmp_u_f32 s[54:55], v[vgprValuC+73], v[vgprValuC+73] // check Nan
v_bfe_u32 v6, v[vgprValuC+73], 16, 1               // Non-Nan case: store lsb of bf16
v_add3_u32 v6, v[vgprValuC+73], v6, v9             // Non-Nan case: add lsb and the increment for rounding
v_cndmask_b32 v[vgprValuC+73], v6, v8, s[54:55]    // 
v_lshrrev_b32 v[vgprValuC+73], 16, v[vgprValuC+73] // convert C to bf16
v_lshlrev_b32 v4, 16, v76                          // convert bf16 to fp32
_v_mac_f32 v[vgprValuC+77], v4, s[sgprBeta]        // finalSum = sum*alpha + C*beta
v_cmp_u_f32 s[54:55], v[vgprValuC+77], v[vgprValuC+77] // check Nan
v_bfe_u32 v6, v[vgprValuC+77], 16, 1               // Non-Nan case: store lsb of bf16
v_add3_u32 v6, v[vgprValuC+77], v6, v9             // Non-Nan case: add lsb and the increment for rounding
v_cndmask_b32 v[vgprValuC+77], v6, v8, s[54:55]    // 
v_lshrrev_b32 v[vgprValuC+77], 16, v[vgprValuC+77] // convert C to bf16
v_lshlrev_b32 v4, 16, v80                          // convert bf16 to fp32
_v_mac_f32 v[vgprValuC+81], v4, s[sgprBeta]        // finalSum = sum*alpha + C*beta
v_cmp_u_f32 s[54:55], v[vgprValuC+81], v[vgprValuC+81] // check Nan
v_bfe_u32 v6, v[vgprValuC+81], 16, 1               // Non-Nan case: store lsb of bf16
v_add3_u32 v6, v[vgprValuC+81], v6, v9             // Non-Nan case: add lsb and the increment for rounding
v_cndmask_b32 v[vgprValuC+81], v6, v8, s[54:55]    // 
v_lshrrev_b32 v[vgprValuC+81], 16, v[vgprValuC+81] // convert C to bf16
v_lshlrev_b32 v4, 16, v84                          // convert bf16 to fp32
_v_mac_f32 v[vgprValuC+85], v4, s[sgprBeta]        // finalSum = sum*alpha + C*beta
v_cmp_u_f32 s[54:55], v[vgprValuC+85], v[vgprValuC+85] // check Nan
v_bfe_u32 v6, v[vgprValuC+85], 16, 1               // Non-Nan case: store lsb of bf16
v_add3_u32 v6, v[vgprValuC+85], v6, v9             // Non-Nan case: add lsb and the increment for rounding
v_cndmask_b32 v[vgprValuC+85], v6, v8, s[54:55]    // 
v_lshrrev_b32 v[vgprValuC+85], 16, v[vgprValuC+85] // convert C to bf16
v_lshlrev_b32 v4, 16, v88                          // convert bf16 to fp32
_v_mac_f32 v[vgprValuC+89], v4, s[sgprBeta]        // finalSum = sum*alpha + C*beta
v_cmp_u_f32 s[54:55], v[vgprValuC+89], v[vgprValuC+89] // check Nan
v_bfe_u32 v6, v[vgprValuC+89], 16, 1               // Non-Nan case: store lsb of bf16
v_add3_u32 v6, v[vgprValuC+89], v6, v9             // Non-Nan case: add lsb and the increment for rounding
v_cndmask_b32 v[vgprValuC+89], v6, v8, s[54:55]    // 
v_lshrrev_b32 v[vgprValuC+89], 16, v[vgprValuC+89] // convert C to bf16
v_lshlrev_b32 v4, 16, v92                          // convert bf16 to fp32
_v_mac_f32 v[vgprValuC+93], v4, s[sgprBeta]        // finalSum = sum*alpha + C*beta
v_cmp_u_f32 s[54:55], v[vgprValuC+93], v[vgprValuC+93] // check Nan
v_bfe_u32 v6, v[vgprValuC+93], 16, 1               // Non-Nan case: store lsb of bf16
v_add3_u32 v6, v[vgprValuC+93], v6, v9             // Non-Nan case: add lsb and the increment for rounding
v_cndmask_b32 v[vgprValuC+93], v6, v8, s[54:55]    // 
v_lshrrev_b32 v[vgprValuC+93], 16, v[vgprValuC+93] // convert C to bf16
v_lshlrev_b32 v4, 16, v96                          // convert bf16 to fp32
_v_mac_f32 v[vgprValuC+97], v4, s[sgprBeta]        // finalSum = sum*alpha + C*beta
v_cmp_u_f32 s[54:55], v[vgprValuC+97], v[vgprValuC+97] // check Nan
v_bfe_u32 v6, v[vgprValuC+97], 16, 1               // Non-Nan case: store lsb of bf16
v_add3_u32 v6, v[vgprValuC+97], v6, v9             // Non-Nan case: add lsb and the increment for rounding
v_cndmask_b32 v[vgprValuC+97], v6, v8, s[54:55]    // 
v_lshrrev_b32 v[vgprValuC+97], 16, v[vgprValuC+97] // convert C to bf16
v_lshlrev_b32 v4, 16, v100                         // convert bf16 to fp32
_v_mac_f32 v[vgprValuC+101], v4, s[sgprBeta]       // finalSum = sum*alpha + C*beta
v_cmp_u_f32 s[54:55], v[vgprValuC+101], v[vgprValuC+101] // check Nan
v_bfe_u32 v6, v[vgprValuC+101], 16, 1              // Non-Nan case: store lsb of bf16
v_add3_u32 v6, v[vgprValuC+101], v6, v9            // Non-Nan case: add lsb and the increment for rounding
v_cndmask_b32 v[vgprValuC+101], v6, v8, s[54:55]   // 
v_lshrrev_b32 v[vgprValuC+101], 16, v[vgprValuC+101] // convert C to bf16
v_lshlrev_b32 v4, 16, v104                         // convert bf16 to fp32
_v_mac_f32 v[vgprValuC+105], v4, s[sgprBeta]       // finalSum = sum*alpha + C*beta
v_cmp_u_f32 s[54:55], v[vgprValuC+105], v[vgprValuC+105] // check Nan
v_bfe_u32 v6, v[vgprValuC+105], 16, 1              // Non-Nan case: store lsb of bf16
v_add3_u32 v6, v[vgprValuC+105], v6, v9            // Non-Nan case: add lsb and the increment for rounding
v_cndmask_b32 v[vgprValuC+105], v6, v8, s[54:55]   // 
v_lshrrev_b32 v[vgprValuC+105], 16, v[vgprValuC+105] // convert C to bf16
	;; [unrolled: 7-line block ×38, first 2 shown]
_buffer_store_b16 v13, v10, s[sgprSrdD:sgprSrdD+3], 0, offen, offset:0,  sc0 sc1 // store D
_buffer_store_b16 v17, v14, s[sgprSrdD:sgprSrdD+3], 0, offen, offset:0,  sc0 sc1 // store D
_buffer_store_b16 v21, v18, s[sgprSrdD:sgprSrdD+3], 0, offen, offset:0,  sc0 sc1 // store D
_buffer_store_b16 v25, v22, s[sgprSrdD:sgprSrdD+3], 0, offen, offset:0,  sc0 sc1 // store D
_buffer_store_b16 v29, v26, s[sgprSrdD:sgprSrdD+3], 0, offen, offset:0,  sc0 sc1 // store D
_buffer_store_b16 v33, v30, s[sgprSrdD:sgprSrdD+3], 0, offen, offset:0,  sc0 sc1 // store D
_buffer_store_b16 v37, v34, s[sgprSrdD:sgprSrdD+3], 0, offen, offset:0,  sc0 sc1 // store D
_buffer_store_b16 v41, v38, s[sgprSrdD:sgprSrdD+3], 0, offen, offset:0,  sc0 sc1 // store D
_buffer_store_b16 v45, v42, s[sgprSrdD:sgprSrdD+3], 0, offen, offset:0,  sc0 sc1 // store D
_buffer_store_b16 v49, v46, s[sgprSrdD:sgprSrdD+3], 0, offen, offset:0,  sc0 sc1 // store D
_buffer_store_b16 v53, v50, s[sgprSrdD:sgprSrdD+3], 0, offen, offset:0,  sc0 sc1 // store D
_buffer_store_b16 v57, v54, s[sgprSrdD:sgprSrdD+3], 0, offen, offset:0,  sc0 sc1 // store D
_buffer_store_b16 v61, v58, s[sgprSrdD:sgprSrdD+3], 0, offen, offset:0,  sc0 sc1 // store D
_buffer_store_b16 v65, v62, s[sgprSrdD:sgprSrdD+3], 0, offen, offset:0,  sc0 sc1 // store D
_buffer_store_b16 v69, v66, s[sgprSrdD:sgprSrdD+3], 0, offen, offset:0,  sc0 sc1 // store D
_buffer_store_b16 v73, v70, s[sgprSrdD:sgprSrdD+3], 0, offen, offset:0,  sc0 sc1 // store D
_buffer_store_b16 v77, v74, s[sgprSrdD:sgprSrdD+3], 0, offen, offset:0,  sc0 sc1 // store D
_buffer_store_b16 v81, v78, s[sgprSrdD:sgprSrdD+3], 0, offen, offset:0,  sc0 sc1 // store D
_buffer_store_b16 v85, v82, s[sgprSrdD:sgprSrdD+3], 0, offen, offset:0,  sc0 sc1 // store D
_buffer_store_b16 v89, v86, s[sgprSrdD:sgprSrdD+3], 0, offen, offset:0,  sc0 sc1 // store D
_buffer_store_b16 v93, v90, s[sgprSrdD:sgprSrdD+3], 0, offen, offset:0,  sc0 sc1 // store D
_buffer_store_b16 v97, v94, s[sgprSrdD:sgprSrdD+3], 0, offen, offset:0,  sc0 sc1 // store D
_buffer_store_b16 v101, v98, s[sgprSrdD:sgprSrdD+3], 0, offen, offset:0,  sc0 sc1 // store D
_buffer_store_b16 v105, v102, s[sgprSrdD:sgprSrdD+3], 0, offen, offset:0,  sc0 sc1 // store D
_buffer_store_b16 v109, v106, s[sgprSrdD:sgprSrdD+3], 0, offen, offset:0,  sc0 sc1 // store D
_buffer_store_b16 v113, v110, s[sgprSrdD:sgprSrdD+3], 0, offen, offset:0,  sc0 sc1 // store D
_buffer_store_b16 v120, v114, s[sgprSrdD:sgprSrdD+3], 0, offen, offset:0,  sc0 sc1 // store D
_buffer_store_b16 v124, v121, s[sgprSrdD:sgprSrdD+3], 0, offen, offset:0,  sc0 sc1 // store D
_buffer_store_b16 v128, v125, s[sgprSrdD:sgprSrdD+3], 0, offen, offset:0,  sc0 sc1 // store D
_buffer_store_b16 v132, v129, s[sgprSrdD:sgprSrdD+3], 0, offen, offset:0,  sc0 sc1 // store D
_buffer_store_b16 v136, v133, s[sgprSrdD:sgprSrdD+3], 0, offen, offset:0,  sc0 sc1 // store D
_buffer_store_b16 v140, v137, s[sgprSrdD:sgprSrdD+3], 0, offen, offset:0,  sc0 sc1 // store D
_buffer_store_b16 v144, v141, s[sgprSrdD:sgprSrdD+3], 0, offen, offset:0,  sc0 sc1 // store D
_buffer_store_b16 v148, v145, s[sgprSrdD:sgprSrdD+3], 0, offen, offset:0,  sc0 sc1 // store D
_buffer_store_b16 v152, v149, s[sgprSrdD:sgprSrdD+3], 0, offen, offset:0,  sc0 sc1 // store D
_buffer_store_b16 v156, v153, s[sgprSrdD:sgprSrdD+3], 0, offen, offset:0,  sc0 sc1 // store D
_buffer_store_b16 v160, v157, s[sgprSrdD:sgprSrdD+3], 0, offen, offset:0,  sc0 sc1 // store D
_buffer_store_b16 v164, v161, s[sgprSrdD:sgprSrdD+3], 0, offen, offset:0,  sc0 sc1 // store D
_buffer_store_b16 v168, v165, s[sgprSrdD:sgprSrdD+3], 0, offen, offset:0,  sc0 sc1 // store D
_buffer_store_b16 v172, v169, s[sgprSrdD:sgprSrdD+3], 0, offen, offset:0,  sc0 sc1 // store D
_buffer_store_b16 v176, v173, s[sgprSrdD:sgprSrdD+3], 0, offen, offset:0,  sc0 sc1 // store D
_buffer_store_b16 v180, v177, s[sgprSrdD:sgprSrdD+3], 0, offen, offset:0,  sc0 sc1 // store D
_buffer_store_b16 v184, v181, s[sgprSrdD:sgprSrdD+3], 0, offen, offset:0,  sc0 sc1 // store D
_buffer_store_b16 v188, v185, s[sgprSrdD:sgprSrdD+3], 0, offen, offset:0,  sc0 sc1 // store D
_buffer_store_b16 v192, v189, s[sgprSrdD:sgprSrdD+3], 0, offen, offset:0,  sc0 sc1 // store D
_buffer_store_b16 v196, v193, s[sgprSrdD:sgprSrdD+3], 0, offen, offset:0,  sc0 sc1 // store D
_buffer_store_b16 v200, v197, s[sgprSrdD:sgprSrdD+3], 0, offen, offset:0,  sc0 sc1 // store D
_buffer_store_b16 v204, v201, s[sgprSrdD:sgprSrdD+3], 0, offen, offset:0,  sc0 sc1 // store D
_buffer_store_b16 v208, v205, s[sgprSrdD:sgprSrdD+3], 0, offen, offset:0,  sc0 sc1 // store D
_buffer_store_b16 v212, v209, s[sgprSrdD:sgprSrdD+3], 0, offen, offset:0,  sc0 sc1 // store D
_buffer_store_b16 v216, v213, s[sgprSrdD:sgprSrdD+3], 0, offen, offset:0,  sc0 sc1 // store D
_buffer_store_b16 v220, v217, s[sgprSrdD:sgprSrdD+3], 0, offen, offset:0,  sc0 sc1 // store D
_buffer_store_b16 v224, v221, s[sgprSrdD:sgprSrdD+3], 0, offen, offset:0,  sc0 sc1 // store D
_buffer_store_b16 v228, v225, s[sgprSrdD:sgprSrdD+3], 0, offen, offset:0,  sc0 sc1 // store D
_buffer_store_b16 v232, v229, s[sgprSrdD:sgprSrdD+3], 0, offen, offset:0,  sc0 sc1 // store D
_buffer_store_b16 v236, v233, s[sgprSrdD:sgprSrdD+3], 0, offen, offset:0,  sc0 sc1 // store D
_buffer_store_b16 v240, v237, s[sgprSrdD:sgprSrdD+3], 0, offen, offset:0,  sc0 sc1 // store D
_buffer_store_b16 v244, v241, s[sgprSrdD:sgprSrdD+3], 0, offen, offset:0,  sc0 sc1 // store D
_buffer_store_b16 v248, v245, s[sgprSrdD:sgprSrdD+3], 0, offen, offset:0,  sc0 sc1 // store D
_buffer_store_b16 v252, v249, s[sgprSrdD:sgprSrdD+3], 0, offen, offset:0,  sc0 sc1 // store D
s_nop 0                                            // 1 wait state required when next inst writes vgprs held by previous dwordx4 store inst
/* optSingleColVgpr=0 optSharedColVgpr=0 optSGPRUsage=BufferLoad_Edge_Mask optSrdIncForRow=0 */
s_sleep 5 // optimization: sync and wait
s_barrier

/******************************************/
/* Global Write Alpha Beta Edge Batch #4 (d1,d0,vc1,vc0) = */
/*    (3,0,3,0:vw1); (3,0,3,1:vw1); (3,0,3,2:vw1); (3,0,3,3:vw1); (3,1,3,0:vw1); (3,1,3,1:vw1); (3,1,3,2:vw1); (3,1,3,3:vw1); (3,2,3,0:vw1); (3,2,3,1:vw1); (3,2,3,2:vw1); (3,2,3,3:vw1); (3,3,3,0:vw1); (3,3,3,1:vw1); (3,3,3,2:vw1); (3,3,3,3:vw1) */
/******************************************/

/* calc coords, apply mask, and issue loads (if necessary) */
/* (d1,vc1,d0,vc0)=(3,3,0,0) */
_v_add_co_u32 v1, vcc, v1, 1                       // coord1.1: coord1Vgpr += d1*sg1*VW + vc1

/* Fix for UseInitialStridesCD, emitAddressSetupCode */
_v_add_u32 v2, v2, s[sgprStrideC1J]                // ROWINC- Move cinRowPtr to next row
_v_add_u32 v3, v3, s[sgprStrideD1J]                // Move coutRowPtr to next row
v_cmp_lt_u32 s[54:55], v0, s[sgprSizeI]            // coord0 < size0
v_cmp_lt_u32 s[58:59], v1, s[sgprSizeJ]            // coord1 < size1
s_and_b64 s[58:59], s[54:55], s[58:59]             // in0 && in1
_v_add_lshl_u32 v11, v2, v0, 0x1                   // scaleToBpe: accumulate d0 lower and *= bpe into Cin addr
v_cndmask_b32 v11, -1, v11, s[58:59]               // LDC clip if OOB. offset
_v_add_lshl_u32 v10, v3, v0, 0x1                   // scaleToBpe: accumulate d0 lower and *= bpe into Cin addr
v_cndmask_b32 v10, -1, v10, s[58:59]               // LDD clip if OOB. offset
/* (d1,vc1,d0,vc0)=(3,3,0,1) */
_v_add_co_u32 v4, vcc, v0, 1                       // coord0.1: coord0 += d0*sg0*VW + vc0
v_cmp_lt_u32 s[54:55], v4, s[sgprSizeI]            // coord0 < size0
v_cmp_lt_u32 s[58:59], v1, s[sgprSizeJ]            // coord1 < size1
s_and_b64 s[58:59], s[54:55], s[58:59]             // in0 && in1
_v_add_lshl_u32 v15, v2, v4, 0x1                   // scaleToBpe: accumulate d0 lower and *= bpe into Cin addr
v_cndmask_b32 v15, -1, v15, s[58:59]               // LDC clip if OOB. offset
_v_add_lshl_u32 v14, v3, v4, 0x1                   // scaleToBpe: accumulate d0 lower and *= bpe into Cin addr
v_cndmask_b32 v14, -1, v14, s[58:59]               // LDD clip if OOB. offset
/* (d1,vc1,d0,vc0)=(3,3,0,2) */
_v_add_co_u32 v4, vcc, v0, 2                       // coord0.1: coord0 += d0*sg0*VW + vc0
	;; [unrolled: 9-line block ×3, first 2 shown]
v_cmp_lt_u32 s[54:55], v4, s[sgprSizeI]            // coord0 < size0
v_cmp_lt_u32 s[58:59], v1, s[sgprSizeJ]            // coord1 < size1
s_and_b64 s[58:59], s[54:55], s[58:59]             // in0 && in1
_v_add_lshl_u32 v23, v2, v4, 0x1                   // scaleToBpe: accumulate d0 lower and *= bpe into Cin addr
v_cndmask_b32 v23, -1, v23, s[58:59]               // LDC clip if OOB. offset
_v_add_lshl_u32 v22, v3, v4, 0x1                   // scaleToBpe: accumulate d0 lower and *= bpe into Cin addr
v_cndmask_b32 v22, -1, v22, s[58:59]               // LDD clip if OOB. offset
/* (d1,vc1,d0,vc0)=(3,3,1,0) */
_v_add_co_u32 v4, vcc, v0, 64                      // coord0.1: coord0 += d0*sg0*VW + vc0
v_cmp_lt_u32 s[54:55], v4, s[sgprSizeI]            // coord0 < size0
v_cmp_lt_u32 s[58:59], v1, s[sgprSizeJ]            // coord1 < size1
s_and_b64 s[58:59], s[54:55], s[58:59]             // in0 && in1
_v_add_lshl_u32 v27, v2, v4, 0x1                   // scaleToBpe: accumulate d0 lower and *= bpe into Cin addr
v_cndmask_b32 v27, -1, v27, s[58:59]               // LDC clip if OOB. offset
_v_add_lshl_u32 v26, v3, v4, 0x1                   // scaleToBpe: accumulate d0 lower and *= bpe into Cin addr
v_cndmask_b32 v26, -1, v26, s[58:59]               // LDD clip if OOB. offset
/* (d1,vc1,d0,vc0)=(3,3,1,1) */
s_mov_b32 s54, 65                                  // coordOffset0 d0=1 vc0=1
_v_add_co_u32 v4, vcc, v0, s54                     // coord0.2: coord0 += d0*sg0*VW + vc0
v_cmp_lt_u32 s[54:55], v4, s[sgprSizeI]            // coord0 < size0
v_cmp_lt_u32 s[58:59], v1, s[sgprSizeJ]            // coord1 < size1
s_and_b64 s[58:59], s[54:55], s[58:59]             // in0 && in1
_v_add_lshl_u32 v31, v2, v4, 0x1                   // scaleToBpe: accumulate d0 lower and *= bpe into Cin addr
v_cndmask_b32 v31, -1, v31, s[58:59]               // LDC clip if OOB. offset
_v_add_lshl_u32 v30, v3, v4, 0x1                   // scaleToBpe: accumulate d0 lower and *= bpe into Cin addr
v_cndmask_b32 v30, -1, v30, s[58:59]               // LDD clip if OOB. offset
/* (d1,vc1,d0,vc0)=(3,3,1,2) */
s_mov_b32 s54, 66                                  // coordOffset0 d0=1 vc0=2
_v_add_co_u32 v4, vcc, v0, s54                     // coord0.2: coord0 += d0*sg0*VW + vc0
	;; [unrolled: 10-line block ×3, first 2 shown]
v_cmp_lt_u32 s[54:55], v4, s[sgprSizeI]            // coord0 < size0
v_cmp_lt_u32 s[58:59], v1, s[sgprSizeJ]            // coord1 < size1
s_and_b64 s[58:59], s[54:55], s[58:59]             // in0 && in1
_v_add_lshl_u32 v39, v2, v4, 0x1                   // scaleToBpe: accumulate d0 lower and *= bpe into Cin addr
v_cndmask_b32 v39, -1, v39, s[58:59]               // LDC clip if OOB. offset
_v_add_lshl_u32 v38, v3, v4, 0x1                   // scaleToBpe: accumulate d0 lower and *= bpe into Cin addr
v_cndmask_b32 v38, -1, v38, s[58:59]               // LDD clip if OOB. offset
/* (d1,vc1,d0,vc0)=(3,3,2,0) */
s_mov_b32 s54, 128                                 // coordOffset0 d0=2 vc0=0
_v_add_co_u32 v4, vcc, v0, s54                     // coord0.2: coord0 += d0*sg0*VW + vc0
v_cmp_lt_u32 s[54:55], v4, s[sgprSizeI]            // coord0 < size0
v_cmp_lt_u32 s[58:59], v1, s[sgprSizeJ]            // coord1 < size1
s_and_b64 s[58:59], s[54:55], s[58:59]             // in0 && in1
_v_add_lshl_u32 v43, v2, v4, 0x1                   // scaleToBpe: accumulate d0 lower and *= bpe into Cin addr
v_cndmask_b32 v43, -1, v43, s[58:59]               // LDC clip if OOB. offset
_v_add_lshl_u32 v42, v3, v4, 0x1                   // scaleToBpe: accumulate d0 lower and *= bpe into Cin addr
v_cndmask_b32 v42, -1, v42, s[58:59]               // LDD clip if OOB. offset
/* (d1,vc1,d0,vc0)=(3,3,2,1) */
s_mov_b32 s54, 129                                 // coordOffset0 d0=2 vc0=1
_v_add_co_u32 v4, vcc, v0, s54                     // coord0.2: coord0 += d0*sg0*VW + vc0
	;; [unrolled: 10-line block ×8, first 2 shown]
v_cmp_lt_u32 s[54:55], v4, s[sgprSizeI]            // coord0 < size0
v_cmp_lt_u32 s[58:59], v1, s[sgprSizeJ]            // coord1 < size1
s_and_b64 s[58:59], s[54:55], s[58:59]             // in0 && in1
_v_add_lshl_u32 v71, v2, v4, 0x1                   // scaleToBpe: accumulate d0 lower and *= bpe into Cin addr
v_cndmask_b32 v71, -1, v71, s[58:59]               // LDC clip if OOB. offset
_v_add_lshl_u32 v70, v3, v4, 0x1                   // scaleToBpe: accumulate d0 lower and *= bpe into Cin addr
v_cndmask_b32 v70, -1, v70, s[58:59]               // LDD clip if OOB. offset
_buffer_load_d16_b16 v12, v11, s[sgprSrdC:sgprSrdC+3], 0, offen offset:0,  sc0 sc1 // load C for beta calc
_buffer_load_d16_b16 v16, v15, s[sgprSrdC:sgprSrdC+3], 0, offen offset:0,  sc0 sc1 // load C for beta calc
_buffer_load_d16_b16 v20, v19, s[sgprSrdC:sgprSrdC+3], 0, offen offset:0,  sc0 sc1 // load C for beta calc
_buffer_load_d16_b16 v24, v23, s[sgprSrdC:sgprSrdC+3], 0, offen offset:0,  sc0 sc1 // load C for beta calc
_buffer_load_d16_b16 v28, v27, s[sgprSrdC:sgprSrdC+3], 0, offen offset:0,  sc0 sc1 // load C for beta calc
_buffer_load_d16_b16 v32, v31, s[sgprSrdC:sgprSrdC+3], 0, offen offset:0,  sc0 sc1 // load C for beta calc
_buffer_load_d16_b16 v36, v35, s[sgprSrdC:sgprSrdC+3], 0, offen offset:0,  sc0 sc1 // load C for beta calc
_buffer_load_d16_b16 v40, v39, s[sgprSrdC:sgprSrdC+3], 0, offen offset:0,  sc0 sc1 // load C for beta calc
_buffer_load_d16_b16 v44, v43, s[sgprSrdC:sgprSrdC+3], 0, offen offset:0,  sc0 sc1 // load C for beta calc
_buffer_load_d16_b16 v48, v47, s[sgprSrdC:sgprSrdC+3], 0, offen offset:0,  sc0 sc1 // load C for beta calc
_buffer_load_d16_b16 v52, v51, s[sgprSrdC:sgprSrdC+3], 0, offen offset:0,  sc0 sc1 // load C for beta calc
_buffer_load_d16_b16 v56, v55, s[sgprSrdC:sgprSrdC+3], 0, offen offset:0,  sc0 sc1 // load C for beta calc
_buffer_load_d16_b16 v60, v59, s[sgprSrdC:sgprSrdC+3], 0, offen offset:0,  sc0 sc1 // load C for beta calc
_buffer_load_d16_b16 v64, v63, s[sgprSrdC:sgprSrdC+3], 0, offen offset:0,  sc0 sc1 // load C for beta calc
_buffer_load_d16_b16 v68, v67, s[sgprSrdC:sgprSrdC+3], 0, offen offset:0,  sc0 sc1 // load C for beta calc
_buffer_load_d16_b16 v72, v71, s[sgprSrdC:sgprSrdC+3], 0, offen offset:0,  sc0 sc1 // load C for beta calc
s_sleep 5 // optimization: sync and wait
s_barrier
v_accvgpr_read_b32 v[vgprValuC+13], acc195 // copy acc to vreg[240]
v_accvgpr_read_b32 v[vgprValuC+17], acc199 // copy acc to vreg[241]
v_accvgpr_read_b32 v[vgprValuC+21], acc203 // copy acc to vreg[242]
v_accvgpr_read_b32 v[vgprValuC+25], acc207 // copy acc to vreg[243]
v_accvgpr_read_b32 v[vgprValuC+29], acc211 // copy acc to vreg[244]
v_accvgpr_read_b32 v[vgprValuC+33], acc215 // copy acc to vreg[245]
v_accvgpr_read_b32 v[vgprValuC+37], acc219 // copy acc to vreg[246]
v_accvgpr_read_b32 v[vgprValuC+41], acc223 // copy acc to vreg[247]
v_accvgpr_read_b32 v[vgprValuC+45], acc227 // copy acc to vreg[248]
v_accvgpr_read_b32 v[vgprValuC+49], acc231 // copy acc to vreg[249]
v_accvgpr_read_b32 v[vgprValuC+53], acc235 // copy acc to vreg[250]
v_accvgpr_read_b32 v[vgprValuC+57], acc239 // copy acc to vreg[251]
v_accvgpr_read_b32 v[vgprValuC+61], acc243 // copy acc to vreg[252]
v_accvgpr_read_b32 v[vgprValuC+65], acc247 // copy acc to vreg[253]
v_accvgpr_read_b32 v[vgprValuC+69], acc251 // copy acc to vreg[254]
v_accvgpr_read_b32 v[vgprValuC+73], acc255 // copy acc to vreg[255]
s_nop 1                                            // 2 wait states required before reading vgpr

/* rC *= alpha batchElements=[(3, 0, 3, 0), (3, 0, 3, 1), (3, 0, 3, 2), (3, 0, 3, 3), (3, 1, 3, 0), (3, 1, 3, 1), (3, 1, 3, 2), (3, 1, 3, 3), (3, 2, 3, 0), (3, 2, 3, 1), (3, 2, 3, 2), (3, 2, 3, 3), (3, 3, 3, 0), (3, 3, 3, 1), (3, 3, 3, 2), (3, 3, 3, 3)] */
v_mul_f32 v[vgprValuC+13], s[sgprAlpha], v[vgprValuC+13] // *= alpha
v_mul_f32 v[vgprValuC+17], s[sgprAlpha], v[vgprValuC+17] // *= alpha
v_mul_f32 v[vgprValuC+21], s[sgprAlpha], v[vgprValuC+21] // *= alpha
v_mul_f32 v[vgprValuC+25], s[sgprAlpha], v[vgprValuC+25] // *= alpha
v_mul_f32 v[vgprValuC+29], s[sgprAlpha], v[vgprValuC+29] // *= alpha
v_mul_f32 v[vgprValuC+33], s[sgprAlpha], v[vgprValuC+33] // *= alpha
v_mul_f32 v[vgprValuC+37], s[sgprAlpha], v[vgprValuC+37] // *= alpha
v_mul_f32 v[vgprValuC+41], s[sgprAlpha], v[vgprValuC+41] // *= alpha
v_mul_f32 v[vgprValuC+45], s[sgprAlpha], v[vgprValuC+45] // *= alpha
v_mul_f32 v[vgprValuC+49], s[sgprAlpha], v[vgprValuC+49] // *= alpha
v_mul_f32 v[vgprValuC+53], s[sgprAlpha], v[vgprValuC+53] // *= alpha
v_mul_f32 v[vgprValuC+57], s[sgprAlpha], v[vgprValuC+57] // *= alpha
v_mul_f32 v[vgprValuC+61], s[sgprAlpha], v[vgprValuC+61] // *= alpha
v_mul_f32 v[vgprValuC+65], s[sgprAlpha], v[vgprValuC+65] // *= alpha
v_mul_f32 v[vgprValuC+69], s[sgprAlpha], v[vgprValuC+69] // *= alpha
v_mul_f32 v[vgprValuC+73], s[sgprAlpha], v[vgprValuC+73] // *= alpha
s_waitcnt vmcnt(0)                                 // wait C

/* apply mask, calc new C and issue writes */
v_mov_b32 v7, 0xffff0000                           // mask for pack two bfloat16 element to 32bit
v_mov_b32 v8, 0x7fff0000                           // fp32 Nan
v_mov_b32 v9, 0x7fff                               // rounding bias for bfloat16
v_lshlrev_b32 v4, 16, v12                          // convert bf16 to fp32
_v_mac_f32 v[vgprValuC+13], v4, s[sgprBeta]        // finalSum = sum*alpha + C*beta
v_cmp_u_f32 s[54:55], v[vgprValuC+13], v[vgprValuC+13] // check Nan
v_bfe_u32 v6, v[vgprValuC+13], 16, 1               // Non-Nan case: store lsb of bf16
v_add3_u32 v6, v[vgprValuC+13], v6, v9             // Non-Nan case: add lsb and the increment for rounding
v_cndmask_b32 v[vgprValuC+13], v6, v8, s[54:55]    // 
v_lshrrev_b32 v[vgprValuC+13], 16, v[vgprValuC+13] // convert C to bf16
v_lshlrev_b32 v4, 16, v16                          // convert bf16 to fp32
_v_mac_f32 v[vgprValuC+17], v4, s[sgprBeta]        // finalSum = sum*alpha + C*beta
v_cmp_u_f32 s[54:55], v[vgprValuC+17], v[vgprValuC+17] // check Nan
v_bfe_u32 v6, v[vgprValuC+17], 16, 1               // Non-Nan case: store lsb of bf16
v_add3_u32 v6, v[vgprValuC+17], v6, v9             // Non-Nan case: add lsb and the increment for rounding
v_cndmask_b32 v[vgprValuC+17], v6, v8, s[54:55]    // 
v_lshrrev_b32 v[vgprValuC+17], 16, v[vgprValuC+17] // convert C to bf16
	;; [unrolled: 7-line block ×16, first 2 shown]
_buffer_store_b16 v13, v10, s[sgprSrdD:sgprSrdD+3], 0, offen, offset:0,  sc0 sc1 // store D
_buffer_store_b16 v17, v14, s[sgprSrdD:sgprSrdD+3], 0, offen, offset:0,  sc0 sc1 // store D
	;; [unrolled: 1-line block ×16, first 2 shown]
s_nop 0                                            // 1 wait state required when next inst writes vgprs held by previous dwordx4 store inst
s_branch label_GW_End_44                           // jump to end
label_GW_End_44:

label_0049:  /// KernelEnd
s_endpgm                                           // Kernel End

